;; amdgpu-corpus repo=ROCm/rocFFT kind=compiled arch=gfx1201 opt=O3
	.text
	.amdgcn_target "amdgcn-amd-amdhsa--gfx1201"
	.amdhsa_code_object_version 6
	.protected	fft_rtc_fwd_len546_factors_13_3_7_2_wgs_117_tpt_39_halfLds_dp_op_CI_CI_unitstride_sbrr_dirReg ; -- Begin function fft_rtc_fwd_len546_factors_13_3_7_2_wgs_117_tpt_39_halfLds_dp_op_CI_CI_unitstride_sbrr_dirReg
	.globl	fft_rtc_fwd_len546_factors_13_3_7_2_wgs_117_tpt_39_halfLds_dp_op_CI_CI_unitstride_sbrr_dirReg
	.p2align	8
	.type	fft_rtc_fwd_len546_factors_13_3_7_2_wgs_117_tpt_39_halfLds_dp_op_CI_CI_unitstride_sbrr_dirReg,@function
fft_rtc_fwd_len546_factors_13_3_7_2_wgs_117_tpt_39_halfLds_dp_op_CI_CI_unitstride_sbrr_dirReg: ; @fft_rtc_fwd_len546_factors_13_3_7_2_wgs_117_tpt_39_halfLds_dp_op_CI_CI_unitstride_sbrr_dirReg
; %bb.0:
	s_load_b128 s[8:11], s[0:1], 0x0
	v_mul_u32_u24_e32 v1, 0x691, v0
	s_clause 0x1
	s_load_b128 s[4:7], s[0:1], 0x58
	s_load_b128 s[12:15], s[0:1], 0x18
	v_mov_b32_e32 v4, 0
	v_lshrrev_b32_e32 v2, 16, v1
	v_mov_b32_e32 v1, 0
	s_delay_alu instid0(VALU_DEP_2) | instskip(NEXT) | instid1(VALU_DEP_2)
	v_mad_co_u64_u32 v[108:109], null, ttmp9, 3, v[2:3]
	v_mov_b32_e32 v109, v1
	v_mov_b32_e32 v5, 0
	s_delay_alu instid0(VALU_DEP_2) | instskip(SKIP_2) | instid1(VALU_DEP_3)
	v_dual_mov_b32 v133, v109 :: v_dual_mov_b32 v132, v108
	s_wait_kmcnt 0x0
	v_cmp_lt_u64_e64 s2, s[10:11], 2
	v_dual_mov_b32 v131, v5 :: v_dual_mov_b32 v130, v4
	s_delay_alu instid0(VALU_DEP_2)
	s_and_b32 vcc_lo, exec_lo, s2
	s_cbranch_vccnz .LBB0_8
; %bb.1:
	s_load_b64 s[2:3], s[0:1], 0x10
	v_mov_b32_e32 v4, 0
	v_dual_mov_b32 v5, 0 :: v_dual_mov_b32 v6, v108
	v_mov_b32_e32 v7, v109
	s_add_nc_u64 s[16:17], s[14:15], 8
	s_add_nc_u64 s[18:19], s[12:13], 8
	s_delay_alu instid0(VALU_DEP_2)
	v_dual_mov_b32 v131, v5 :: v_dual_mov_b32 v130, v4
	s_mov_b64 s[20:21], 1
	s_wait_kmcnt 0x0
	s_add_nc_u64 s[22:23], s[2:3], 8
	s_mov_b32 s3, 0
.LBB0_2:                                ; =>This Inner Loop Header: Depth=1
	s_load_b64 s[24:25], s[22:23], 0x0
                                        ; implicit-def: $vgpr132_vgpr133
	s_mov_b32 s2, exec_lo
	s_wait_kmcnt 0x0
	v_or_b32_e32 v2, s25, v7
	s_delay_alu instid0(VALU_DEP_1)
	v_cmpx_ne_u64_e32 0, v[1:2]
	s_wait_alu 0xfffe
	s_xor_b32 s26, exec_lo, s2
	s_cbranch_execz .LBB0_4
; %bb.3:                                ;   in Loop: Header=BB0_2 Depth=1
	s_cvt_f32_u32 s2, s24
	s_cvt_f32_u32 s27, s25
	s_sub_nc_u64 s[30:31], 0, s[24:25]
	s_wait_alu 0xfffe
	s_delay_alu instid0(SALU_CYCLE_1) | instskip(SKIP_1) | instid1(SALU_CYCLE_2)
	s_fmamk_f32 s2, s27, 0x4f800000, s2
	s_wait_alu 0xfffe
	v_s_rcp_f32 s2, s2
	s_delay_alu instid0(TRANS32_DEP_1) | instskip(SKIP_1) | instid1(SALU_CYCLE_2)
	s_mul_f32 s2, s2, 0x5f7ffffc
	s_wait_alu 0xfffe
	s_mul_f32 s27, s2, 0x2f800000
	s_wait_alu 0xfffe
	s_delay_alu instid0(SALU_CYCLE_2) | instskip(SKIP_1) | instid1(SALU_CYCLE_2)
	s_trunc_f32 s27, s27
	s_wait_alu 0xfffe
	s_fmamk_f32 s2, s27, 0xcf800000, s2
	s_cvt_u32_f32 s29, s27
	s_wait_alu 0xfffe
	s_delay_alu instid0(SALU_CYCLE_1) | instskip(SKIP_1) | instid1(SALU_CYCLE_2)
	s_cvt_u32_f32 s28, s2
	s_wait_alu 0xfffe
	s_mul_u64 s[34:35], s[30:31], s[28:29]
	s_wait_alu 0xfffe
	s_mul_hi_u32 s37, s28, s35
	s_mul_i32 s36, s28, s35
	s_mul_hi_u32 s2, s28, s34
	s_mul_i32 s33, s29, s34
	s_wait_alu 0xfffe
	s_add_nc_u64 s[36:37], s[2:3], s[36:37]
	s_mul_hi_u32 s27, s29, s34
	s_mul_hi_u32 s38, s29, s35
	s_add_co_u32 s2, s36, s33
	s_wait_alu 0xfffe
	s_add_co_ci_u32 s2, s37, s27
	s_mul_i32 s34, s29, s35
	s_add_co_ci_u32 s35, s38, 0
	s_wait_alu 0xfffe
	s_add_nc_u64 s[34:35], s[2:3], s[34:35]
	s_wait_alu 0xfffe
	v_add_co_u32 v2, s2, s28, s34
	s_delay_alu instid0(VALU_DEP_1) | instskip(SKIP_1) | instid1(VALU_DEP_1)
	s_cmp_lg_u32 s2, 0
	s_add_co_ci_u32 s29, s29, s35
	v_readfirstlane_b32 s28, v2
	s_wait_alu 0xfffe
	s_delay_alu instid0(VALU_DEP_1)
	s_mul_u64 s[30:31], s[30:31], s[28:29]
	s_wait_alu 0xfffe
	s_mul_hi_u32 s35, s28, s31
	s_mul_i32 s34, s28, s31
	s_mul_hi_u32 s2, s28, s30
	s_mul_i32 s33, s29, s30
	s_wait_alu 0xfffe
	s_add_nc_u64 s[34:35], s[2:3], s[34:35]
	s_mul_hi_u32 s27, s29, s30
	s_mul_hi_u32 s28, s29, s31
	s_wait_alu 0xfffe
	s_add_co_u32 s2, s34, s33
	s_add_co_ci_u32 s2, s35, s27
	s_mul_i32 s30, s29, s31
	s_add_co_ci_u32 s31, s28, 0
	s_wait_alu 0xfffe
	s_add_nc_u64 s[30:31], s[2:3], s[30:31]
	s_wait_alu 0xfffe
	v_add_co_u32 v8, s2, v2, s30
	s_delay_alu instid0(VALU_DEP_1) | instskip(SKIP_1) | instid1(VALU_DEP_1)
	s_cmp_lg_u32 s2, 0
	s_add_co_ci_u32 s2, s29, s31
	v_mul_hi_u32 v12, v6, v8
	s_wait_alu 0xfffe
	v_mad_co_u64_u32 v[2:3], null, v6, s2, 0
	v_mad_co_u64_u32 v[8:9], null, v7, v8, 0
	;; [unrolled: 1-line block ×3, first 2 shown]
	s_delay_alu instid0(VALU_DEP_3) | instskip(SKIP_1) | instid1(VALU_DEP_4)
	v_add_co_u32 v2, vcc_lo, v12, v2
	s_wait_alu 0xfffd
	v_add_co_ci_u32_e32 v3, vcc_lo, 0, v3, vcc_lo
	s_delay_alu instid0(VALU_DEP_2) | instskip(SKIP_1) | instid1(VALU_DEP_2)
	v_add_co_u32 v2, vcc_lo, v2, v8
	s_wait_alu 0xfffd
	v_add_co_ci_u32_e32 v2, vcc_lo, v3, v9, vcc_lo
	s_wait_alu 0xfffd
	v_add_co_ci_u32_e32 v3, vcc_lo, 0, v11, vcc_lo
	s_delay_alu instid0(VALU_DEP_2) | instskip(SKIP_1) | instid1(VALU_DEP_2)
	v_add_co_u32 v8, vcc_lo, v2, v10
	s_wait_alu 0xfffd
	v_add_co_ci_u32_e32 v9, vcc_lo, 0, v3, vcc_lo
	s_delay_alu instid0(VALU_DEP_2) | instskip(SKIP_1) | instid1(VALU_DEP_3)
	v_mul_lo_u32 v10, s25, v8
	v_mad_co_u64_u32 v[2:3], null, s24, v8, 0
	v_mul_lo_u32 v11, s24, v9
	s_delay_alu instid0(VALU_DEP_2) | instskip(NEXT) | instid1(VALU_DEP_2)
	v_sub_co_u32 v2, vcc_lo, v6, v2
	v_add3_u32 v3, v3, v11, v10
	s_delay_alu instid0(VALU_DEP_1) | instskip(SKIP_1) | instid1(VALU_DEP_1)
	v_sub_nc_u32_e32 v10, v7, v3
	s_wait_alu 0xfffd
	v_subrev_co_ci_u32_e64 v10, s2, s25, v10, vcc_lo
	v_add_co_u32 v11, s2, v8, 2
	s_wait_alu 0xf1ff
	v_add_co_ci_u32_e64 v12, s2, 0, v9, s2
	v_sub_co_u32 v13, s2, v2, s24
	v_sub_co_ci_u32_e32 v3, vcc_lo, v7, v3, vcc_lo
	s_wait_alu 0xf1ff
	v_subrev_co_ci_u32_e64 v10, s2, 0, v10, s2
	s_delay_alu instid0(VALU_DEP_3) | instskip(NEXT) | instid1(VALU_DEP_3)
	v_cmp_le_u32_e32 vcc_lo, s24, v13
	v_cmp_eq_u32_e64 s2, s25, v3
	s_wait_alu 0xfffd
	v_cndmask_b32_e64 v13, 0, -1, vcc_lo
	v_cmp_le_u32_e32 vcc_lo, s25, v10
	s_wait_alu 0xfffd
	v_cndmask_b32_e64 v14, 0, -1, vcc_lo
	v_cmp_le_u32_e32 vcc_lo, s24, v2
	;; [unrolled: 3-line block ×3, first 2 shown]
	s_wait_alu 0xfffd
	v_cndmask_b32_e64 v15, 0, -1, vcc_lo
	v_cmp_eq_u32_e32 vcc_lo, s25, v10
	s_wait_alu 0xf1ff
	s_delay_alu instid0(VALU_DEP_2)
	v_cndmask_b32_e64 v2, v15, v2, s2
	s_wait_alu 0xfffd
	v_cndmask_b32_e32 v10, v14, v13, vcc_lo
	v_add_co_u32 v13, vcc_lo, v8, 1
	s_wait_alu 0xfffd
	v_add_co_ci_u32_e32 v14, vcc_lo, 0, v9, vcc_lo
	s_delay_alu instid0(VALU_DEP_3) | instskip(SKIP_1) | instid1(VALU_DEP_2)
	v_cmp_ne_u32_e32 vcc_lo, 0, v10
	s_wait_alu 0xfffd
	v_dual_cndmask_b32 v3, v14, v12 :: v_dual_cndmask_b32 v10, v13, v11
	v_cmp_ne_u32_e32 vcc_lo, 0, v2
	s_wait_alu 0xfffd
	s_delay_alu instid0(VALU_DEP_2)
	v_dual_cndmask_b32 v133, v9, v3 :: v_dual_cndmask_b32 v132, v8, v10
.LBB0_4:                                ;   in Loop: Header=BB0_2 Depth=1
	s_wait_alu 0xfffe
	s_and_not1_saveexec_b32 s2, s26
	s_cbranch_execz .LBB0_6
; %bb.5:                                ;   in Loop: Header=BB0_2 Depth=1
	v_cvt_f32_u32_e32 v2, s24
	s_sub_co_i32 s26, 0, s24
	v_mov_b32_e32 v133, v1
	s_delay_alu instid0(VALU_DEP_2) | instskip(NEXT) | instid1(TRANS32_DEP_1)
	v_rcp_iflag_f32_e32 v2, v2
	v_mul_f32_e32 v2, 0x4f7ffffe, v2
	s_delay_alu instid0(VALU_DEP_1) | instskip(SKIP_1) | instid1(VALU_DEP_1)
	v_cvt_u32_f32_e32 v2, v2
	s_wait_alu 0xfffe
	v_mul_lo_u32 v3, s26, v2
	s_delay_alu instid0(VALU_DEP_1) | instskip(NEXT) | instid1(VALU_DEP_1)
	v_mul_hi_u32 v3, v2, v3
	v_add_nc_u32_e32 v2, v2, v3
	s_delay_alu instid0(VALU_DEP_1) | instskip(NEXT) | instid1(VALU_DEP_1)
	v_mul_hi_u32 v2, v6, v2
	v_mul_lo_u32 v3, v2, s24
	v_add_nc_u32_e32 v8, 1, v2
	s_delay_alu instid0(VALU_DEP_2) | instskip(NEXT) | instid1(VALU_DEP_1)
	v_sub_nc_u32_e32 v3, v6, v3
	v_subrev_nc_u32_e32 v9, s24, v3
	v_cmp_le_u32_e32 vcc_lo, s24, v3
	s_wait_alu 0xfffd
	s_delay_alu instid0(VALU_DEP_2) | instskip(NEXT) | instid1(VALU_DEP_1)
	v_dual_cndmask_b32 v3, v3, v9 :: v_dual_cndmask_b32 v2, v2, v8
	v_cmp_le_u32_e32 vcc_lo, s24, v3
	s_delay_alu instid0(VALU_DEP_2) | instskip(SKIP_1) | instid1(VALU_DEP_1)
	v_add_nc_u32_e32 v8, 1, v2
	s_wait_alu 0xfffd
	v_cndmask_b32_e32 v132, v2, v8, vcc_lo
.LBB0_6:                                ;   in Loop: Header=BB0_2 Depth=1
	s_wait_alu 0xfffe
	s_or_b32 exec_lo, exec_lo, s2
	v_mul_lo_u32 v8, v133, s24
	s_delay_alu instid0(VALU_DEP_2)
	v_mul_lo_u32 v9, v132, s25
	s_load_b64 s[26:27], s[18:19], 0x0
	v_mad_co_u64_u32 v[2:3], null, v132, s24, 0
	s_load_b64 s[24:25], s[16:17], 0x0
	s_add_nc_u64 s[20:21], s[20:21], 1
	s_add_nc_u64 s[16:17], s[16:17], 8
	s_wait_alu 0xfffe
	v_cmp_ge_u64_e64 s2, s[20:21], s[10:11]
	s_add_nc_u64 s[18:19], s[18:19], 8
	s_add_nc_u64 s[22:23], s[22:23], 8
	v_add3_u32 v3, v3, v9, v8
	v_sub_co_u32 v2, vcc_lo, v6, v2
	s_wait_alu 0xfffd
	s_delay_alu instid0(VALU_DEP_2) | instskip(SKIP_2) | instid1(VALU_DEP_1)
	v_sub_co_ci_u32_e32 v3, vcc_lo, v7, v3, vcc_lo
	s_and_b32 vcc_lo, exec_lo, s2
	s_wait_kmcnt 0x0
	v_mul_lo_u32 v6, s26, v3
	v_mul_lo_u32 v7, s27, v2
	v_mad_co_u64_u32 v[4:5], null, s26, v2, v[4:5]
	v_mul_lo_u32 v3, s24, v3
	v_mul_lo_u32 v8, s25, v2
	v_mad_co_u64_u32 v[130:131], null, s24, v2, v[130:131]
	s_delay_alu instid0(VALU_DEP_4) | instskip(NEXT) | instid1(VALU_DEP_2)
	v_add3_u32 v5, v7, v5, v6
	v_add3_u32 v131, v8, v131, v3
	s_wait_alu 0xfffe
	s_cbranch_vccnz .LBB0_8
; %bb.7:                                ;   in Loop: Header=BB0_2 Depth=1
	v_dual_mov_b32 v6, v132 :: v_dual_mov_b32 v7, v133
	s_branch .LBB0_2
.LBB0_8:
	s_load_b64 s[0:1], s[0:1], 0x28
	v_mul_hi_u32 v1, 0x6906907, v0
	s_lshl_b64 s[10:11], s[10:11], 3
                                        ; implicit-def: $vgpr128
	s_wait_alu 0xfffe
	s_add_nc_u64 s[2:3], s[14:15], s[10:11]
	s_wait_kmcnt 0x0
	v_cmp_gt_u64_e32 vcc_lo, s[0:1], v[132:133]
	v_cmp_le_u64_e64 s0, s[0:1], v[132:133]
	s_delay_alu instid0(VALU_DEP_1)
	s_and_saveexec_b32 s1, s0
	s_wait_alu 0xfffe
	s_xor_b32 s0, exec_lo, s1
; %bb.9:
	v_mul_u32_u24_e32 v1, 39, v1
                                        ; implicit-def: $vgpr4_vgpr5
	s_delay_alu instid0(VALU_DEP_1)
	v_sub_nc_u32_e32 v128, v0, v1
                                        ; implicit-def: $vgpr1
                                        ; implicit-def: $vgpr0
; %bb.10:
	s_wait_alu 0xfffe
	s_or_saveexec_b32 s1, s0
	s_load_b64 s[2:3], s[2:3], 0x0
                                        ; implicit-def: $vgpr38_vgpr39
                                        ; implicit-def: $vgpr42_vgpr43
                                        ; implicit-def: $vgpr54_vgpr55
                                        ; implicit-def: $vgpr62_vgpr63
                                        ; implicit-def: $vgpr82_vgpr83
                                        ; implicit-def: $vgpr50_vgpr51
                                        ; implicit-def: $vgpr46_vgpr47
                                        ; implicit-def: $vgpr58_vgpr59
                                        ; implicit-def: $vgpr94_vgpr95
                                        ; implicit-def: $vgpr98_vgpr99
                                        ; implicit-def: $vgpr90_vgpr91
                                        ; implicit-def: $vgpr102_vgpr103
                                        ; implicit-def: $vgpr2_vgpr3
                                        ; implicit-def: $vgpr6_vgpr7
                                        ; implicit-def: $vgpr10_vgpr11
                                        ; implicit-def: $vgpr14_vgpr15
                                        ; implicit-def: $vgpr26_vgpr27
                                        ; implicit-def: $vgpr30_vgpr31
                                        ; implicit-def: $vgpr22_vgpr23
                                        ; implicit-def: $vgpr18_vgpr19
                                        ; implicit-def: $vgpr66_vgpr67
                                        ; implicit-def: $vgpr74_vgpr75
                                        ; implicit-def: $vgpr70_vgpr71
                                        ; implicit-def: $vgpr78_vgpr79
                                        ; implicit-def: $vgpr86_vgpr87
                                        ; implicit-def: $vgpr34_vgpr35
	s_xor_b32 exec_lo, exec_lo, s1
	s_cbranch_execz .LBB0_14
; %bb.11:
	s_add_nc_u64 s[10:11], s[12:13], s[10:11]
                                        ; implicit-def: $vgpr100_vgpr101
                                        ; implicit-def: $vgpr88_vgpr89
                                        ; implicit-def: $vgpr96_vgpr97
                                        ; implicit-def: $vgpr92_vgpr93
                                        ; implicit-def: $vgpr56_vgpr57
                                        ; implicit-def: $vgpr44_vgpr45
                                        ; implicit-def: $vgpr48_vgpr49
                                        ; implicit-def: $vgpr80_vgpr81
                                        ; implicit-def: $vgpr60_vgpr61
                                        ; implicit-def: $vgpr52_vgpr53
                                        ; implicit-def: $vgpr40_vgpr41
                                        ; implicit-def: $vgpr36_vgpr37
	s_load_b64 s[10:11], s[10:11], 0x0
	s_wait_kmcnt 0x0
	v_mul_lo_u32 v6, s11, v132
	v_mul_lo_u32 v7, s10, v133
	v_mad_co_u64_u32 v[2:3], null, s10, v132, 0
	s_delay_alu instid0(VALU_DEP_1) | instskip(SKIP_1) | instid1(VALU_DEP_2)
	v_add3_u32 v3, v3, v7, v6
	v_mul_u32_u24_e32 v6, 39, v1
	v_lshlrev_b64_e32 v[1:2], 4, v[2:3]
	v_lshlrev_b64_e32 v[3:4], 4, v[4:5]
	s_delay_alu instid0(VALU_DEP_3) | instskip(NEXT) | instid1(VALU_DEP_3)
	v_sub_nc_u32_e32 v128, v0, v6
	v_add_co_u32 v0, s0, s4, v1
	s_wait_alu 0xf1ff
	s_delay_alu instid0(VALU_DEP_4) | instskip(NEXT) | instid1(VALU_DEP_3)
	v_add_co_ci_u32_e64 v1, s0, s5, v2, s0
	v_lshlrev_b32_e32 v2, 4, v128
	s_delay_alu instid0(VALU_DEP_3) | instskip(SKIP_1) | instid1(VALU_DEP_3)
	v_add_co_u32 v0, s0, v0, v3
	s_wait_alu 0xf1ff
	v_add_co_ci_u32_e64 v1, s0, v1, v4, s0
	s_mov_b32 s4, exec_lo
	s_delay_alu instid0(VALU_DEP_2) | instskip(SKIP_1) | instid1(VALU_DEP_2)
	v_add_co_u32 v38, s0, v0, v2
	s_wait_alu 0xf1ff
	v_add_co_ci_u32_e64 v39, s0, 0, v1, s0
                                        ; implicit-def: $vgpr0_vgpr1
	s_clause 0xc
	global_load_b128 v[32:35], v[38:39], off
	global_load_b128 v[84:87], v[38:39], off offset:672
	global_load_b128 v[76:79], v[38:39], off offset:1344
	;; [unrolled: 1-line block ×12, first 2 shown]
	v_cmpx_gt_u32_e32 3, v128
; %bb.12:
	s_clause 0xc
	global_load_b128 v[0:3], v[38:39], off offset:624
	global_load_b128 v[100:103], v[38:39], off offset:1296
	;; [unrolled: 1-line block ×13, first 2 shown]
; %bb.13:
	s_wait_alu 0xfffe
	s_or_b32 exec_lo, exec_lo, s4
.LBB0_14:
	s_delay_alu instid0(SALU_CYCLE_1)
	s_or_b32 exec_lo, exec_lo, s1
	s_wait_loadcnt 0x0
	v_add_f64_e32 v[104:105], v[4:5], v[84:85]
	s_mov_b32 s4, 0xb2365da1
	s_mov_b32 s10, 0xd0032e0c
	;; [unrolled: 1-line block ×6, first 2 shown]
	v_add_f64_e32 v[106:107], v[8:9], v[76:77]
	v_add_f64_e64 v[111:112], v[86:87], -v[6:7]
	s_mov_b32 s34, 0x2ef20147
	s_mov_b32 s28, 0x24c2f84
	;; [unrolled: 1-line block ×13, first 2 shown]
	s_wait_alu 0xfffe
	s_mov_b32 s36, s26
	v_add_f64_e32 v[109:110], v[12:13], v[68:69]
	v_add_f64_e32 v[113:114], v[24:25], v[72:73]
	v_add_f64_e64 v[119:120], v[78:79], -v[10:11]
	s_mov_b32 s24, 0x66966769
	s_mov_b32 s20, 0x4267c47c
	;; [unrolled: 1-line block ×12, first 2 shown]
	v_mul_f64_e32 v[115:116], s[4:5], v[104:105]
	v_mul_f64_e32 v[117:118], s[10:11], v[104:105]
	;; [unrolled: 1-line block ×6, first 2 shown]
	s_wait_alu 0xfffe
	s_mov_b32 s30, s24
	v_mul_f64_e32 v[134:135], s[10:11], v[106:107]
	v_mul_f64_e32 v[136:137], s[14:15], v[106:107]
	;; [unrolled: 1-line block ×3, first 2 shown]
	s_mov_b32 s0, s20
	s_mov_b32 s40, s38
	;; [unrolled: 1-line block ×3, first 2 shown]
	v_add_f64_e32 v[123:124], v[28:29], v[64:65]
	v_add_f64_e64 v[125:126], v[70:71], -v[14:15]
	v_add_f64_e64 v[140:141], v[74:75], -v[26:27]
	v_mul_f64_e32 v[162:163], s[4:5], v[106:107]
	v_mul_f64_e32 v[168:169], s[16:17], v[106:107]
	;; [unrolled: 1-line block ×3, first 2 shown]
	v_add_f64_e64 v[164:165], v[66:67], -v[30:31]
	v_add_f64_e64 v[224:225], v[18:19], -v[22:23]
	v_mul_hi_u32 v127, 0xaaaaaaab, v108
	v_mul_f64_e32 v[142:143], s[12:13], v[109:110]
	v_mul_f64_e32 v[144:145], s[22:23], v[109:110]
	;; [unrolled: 1-line block ×12, first 2 shown]
	v_lshrrev_b32_e32 v127, 1, v127
	v_fma_f64 v[158:159], v[111:112], s[34:35], v[115:116]
	v_fma_f64 v[160:161], v[111:112], s[28:29], v[117:118]
	;; [unrolled: 1-line block ×5, first 2 shown]
	s_wait_alu 0xfffe
	v_fma_f64 v[200:201], v[111:112], s[30:31], v[156:157]
	v_fma_f64 v[115:116], v[111:112], s[42:43], v[115:116]
	;; [unrolled: 1-line block ×8, first 2 shown]
	v_mul_f64_e32 v[178:179], s[16:17], v[123:124]
	v_fma_f64 v[117:118], v[111:112], s[18:19], v[117:118]
	v_fma_f64 v[134:135], v[119:120], s[28:29], v[134:135]
	;; [unrolled: 1-line block ×6, first 2 shown]
	v_lshl_add_u32 v127, v127, 1, v127
	v_fma_f64 v[186:187], v[125:126], s[0:1], v[142:143]
	v_fma_f64 v[188:189], v[125:126], s[38:39], v[144:145]
	;; [unrolled: 1-line block ×15, first 2 shown]
	v_add_f64_e32 v[158:159], v[32:33], v[158:159]
	v_add_f64_e32 v[160:161], v[32:33], v[160:161]
	v_add_f64_e32 v[166:167], v[32:33], v[166:167]
	v_add_f64_e32 v[121:122], v[32:33], v[121:122]
	v_fma_f64 v[218:219], v[140:141], s[26:27], v[150:151]
	v_fma_f64 v[148:149], v[111:112], s[24:25], v[156:157]
	v_fma_f64 v[111:112], v[119:120], s[38:39], v[106:107]
	v_fma_f64 v[150:151], v[119:120], s[34:35], v[162:163]
	v_fma_f64 v[156:157], v[119:120], s[26:27], v[168:169]
	v_fma_f64 v[106:107], v[119:120], s[40:41], v[106:107]
	v_fma_f64 v[119:120], v[125:126], s[24:25], v[109:110]
	v_fma_f64 v[162:163], v[125:126], s[26:27], v[170:171]
	v_fma_f64 v[168:169], v[125:126], s[42:43], v[172:173]
	v_fma_f64 v[109:110], v[125:126], s[30:31], v[109:110]
	v_fma_f64 v[125:126], v[140:141], s[34:35], v[113:114]
	v_fma_f64 v[170:171], v[140:141], s[18:19], v[174:175]
	v_fma_f64 v[172:173], v[140:141], s[0:1], v[176:177]
	v_fma_f64 v[113:114], v[140:141], s[42:43], v[113:114]
	v_mul_f64_e32 v[140:141], s[12:13], v[123:124]
	v_add_f64_e32 v[174:175], v[32:33], v[198:199]
	v_add_f64_e32 v[176:177], v[32:33], v[200:201]
	;; [unrolled: 1-line block ×5, first 2 shown]
	v_fma_f64 v[200:201], v[164:165], s[36:37], v[178:179]
	v_fma_f64 v[178:179], v[164:165], s[26:27], v[178:179]
	v_add_f64_e32 v[117:118], v[32:33], v[117:118]
	v_add_f64_e32 v[104:105], v[32:33], v[104:105]
	v_sub_nc_u32_e32 v108, v108, v127
	v_mad_u32_u24 v127, 0x68, v128, 0
	s_delay_alu instid0(VALU_DEP_2)
	v_mul_u32_u24_e32 v108, 0x222, v108
	v_add_f64_e32 v[158:159], v[180:181], v[158:159]
	v_mul_f64_e32 v[180:181], s[4:5], v[123:124]
	v_add_f64_e32 v[160:161], v[182:183], v[160:161]
	v_mul_f64_e32 v[182:183], s[14:15], v[123:124]
	v_add_f64_e32 v[166:167], v[184:185], v[166:167]
	v_mul_f64_e32 v[184:185], s[22:23], v[123:124]
	v_mul_f64_e32 v[123:124], s[10:11], v[123:124]
	v_add_f64_e32 v[121:122], v[138:139], v[121:122]
	v_add_f64_e32 v[138:139], v[20:21], v[16:17]
	v_fma_f64 v[220:221], v[164:165], s[20:21], v[140:141]
	v_add_f64_e32 v[174:175], v[202:203], v[174:175]
	v_add_f64_e32 v[176:177], v[206:207], v[176:177]
	v_fma_f64 v[202:203], v[164:165], s[0:1], v[140:141]
	v_add_f64_e32 v[115:116], v[134:135], v[115:116]
	v_add_f64_e32 v[111:112], v[111:112], v[198:199]
	;; [unrolled: 1-line block ×5, first 2 shown]
	v_fma_f64 v[204:205], v[164:165], s[34:35], v[180:181]
	v_fma_f64 v[180:181], v[164:165], s[42:43], v[180:181]
	;; [unrolled: 1-line block ×8, first 2 shown]
	v_mul_f64_e32 v[123:124], s[22:23], v[138:139]
	v_mul_f64_e32 v[140:141], s[14:15], v[138:139]
	;; [unrolled: 1-line block ×6, first 2 shown]
	v_add_f64_e32 v[121:122], v[146:147], v[121:122]
	v_add_f64_e32 v[146:147], v[36:37], v[100:101]
	;; [unrolled: 1-line block ×5, first 2 shown]
	v_add_f64_e64 v[142:143], v[98:99], -v[54:55]
	v_add_f64_e32 v[144:145], v[144:145], v[117:118]
	v_add_f64_e32 v[104:105], v[109:110], v[104:105]
	v_fma_f64 v[230:231], v[224:225], s[40:41], v[123:124]
	v_fma_f64 v[232:233], v[224:225], s[38:39], v[123:124]
	v_add_f64_e32 v[123:124], v[32:33], v[148:149]
	v_add_f64_e32 v[32:33], v[84:85], v[32:33]
	v_add_f64_e64 v[148:149], v[102:103], -v[38:39]
	v_fma_f64 v[226:227], v[224:225], s[30:31], v[140:141]
	v_fma_f64 v[228:229], v[224:225], s[24:25], v[140:141]
	;; [unrolled: 1-line block ×4, first 2 shown]
	v_add_f64_e64 v[150:151], v[90:91], -v[42:43]
	v_fma_f64 v[234:235], v[224:225], s[34:35], v[136:137]
	v_fma_f64 v[236:237], v[224:225], s[42:43], v[136:137]
	;; [unrolled: 1-line block ×6, first 2 shown]
	v_add_f64_e32 v[138:139], v[40:41], v[88:89]
	v_add_f64_e32 v[136:137], v[186:187], v[158:159]
	;; [unrolled: 1-line block ×9, first 2 shown]
	v_add_f64_e64 v[119:120], v[46:47], -v[50:51]
	v_add_f64_e32 v[123:124], v[156:157], v[123:124]
	v_add_f64_e32 v[32:33], v[76:77], v[32:33]
	v_mul_f64_e32 v[140:141], s[0:1], v[148:149]
	v_add_f64_e32 v[156:157], v[188:189], v[160:161]
	v_add_f64_e32 v[160:161], v[208:209], v[174:175]
	v_add_f64_e32 v[174:175], v[218:219], v[144:145]
	v_add_f64_e64 v[144:145], v[94:95], -v[62:63]
	v_mul_f64_e32 v[134:135], s[40:41], v[150:151]
	v_cmp_gt_u32_e64 s1, 3, v128
	v_add_f64_e32 v[158:159], v[196:197], v[158:159]
	v_add_f64_e32 v[166:167], v[214:215], v[166:167]
	;; [unrolled: 1-line block ×10, first 2 shown]
	v_fma_f64 v[106:107], v[146:147], s[12:13], -v[140:141]
	v_add_f64_e32 v[123:124], v[52:53], v[96:97]
	v_mul_f64_e32 v[121:122], s[42:43], v[144:145]
	v_fma_f64 v[117:118], v[138:139], s[22:23], -v[134:135]
	v_add_f64_e32 v[156:157], v[194:195], v[156:157]
	v_add_f64_e32 v[160:161], v[212:213], v[160:161]
	;; [unrolled: 1-line block ×9, first 2 shown]
	v_lshl_add_u32 v152, v108, 3, v127
	v_add_f64_e32 v[162:163], v[172:173], v[162:163]
	v_add_f64_e32 v[168:169], v[178:179], v[168:169]
	;; [unrolled: 1-line block ×5, first 2 shown]
	v_fma_f64 v[113:114], v[125:126], s[4:5], -v[121:122]
	v_add_f64_e32 v[156:157], v[202:203], v[156:157]
	v_add_f64_e32 v[160:161], v[206:207], v[160:161]
	;; [unrolled: 1-line block ×10, first 2 shown]
	v_mul_f64_e32 v[117:118], s[30:31], v[142:143]
	v_add_f64_e32 v[156:157], v[234:235], v[156:157]
	v_add_f64_e32 v[160:161], v[238:239], v[160:161]
	;; [unrolled: 1-line block ×5, first 2 shown]
	v_fma_f64 v[109:110], v[123:124], s[14:15], -v[117:118]
	s_delay_alu instid0(VALU_DEP_3) | instskip(NEXT) | instid1(VALU_DEP_3)
	v_add_f64_e32 v[111:112], v[56:57], v[115:116]
	v_add_f64_e32 v[32:33], v[20:21], v[32:33]
	;; [unrolled: 1-line block ×3, first 2 shown]
	s_delay_alu instid0(VALU_DEP_4)
	v_add_f64_e32 v[106:107], v[109:110], v[106:107]
	v_add_f64_e32 v[109:110], v[192:193], v[136:137]
	v_add_f64_e64 v[136:137], v[58:59], -v[82:83]
	v_add_f64_e32 v[111:112], v[44:45], v[111:112]
	v_add_f64_e32 v[32:33], v[28:29], v[32:33]
	v_add_f64_e32 v[106:107], v[113:114], v[106:107]
	v_add_f64_e32 v[172:173], v[200:201], v[109:110]
	v_mul_f64_e32 v[113:114], s[18:19], v[136:137]
	v_mul_f64_e32 v[109:110], s[36:37], v[119:120]
	v_add_f64_e32 v[111:112], v[48:49], v[111:112]
	v_add_f64_e32 v[32:33], v[24:25], v[32:33]
	;; [unrolled: 1-line block ×3, first 2 shown]
	v_fma_f64 v[178:179], v[115:116], s[10:11], -v[113:114]
	s_delay_alu instid0(VALU_DEP_4) | instskip(NEXT) | instid1(VALU_DEP_4)
	v_add_f64_e32 v[111:112], v[80:81], v[111:112]
	v_add_f64_e32 v[32:33], v[12:13], v[32:33]
	s_delay_alu instid0(VALU_DEP_3) | instskip(NEXT) | instid1(VALU_DEP_3)
	v_add_f64_e32 v[106:107], v[178:179], v[106:107]
	v_add_f64_e32 v[186:187], v[60:61], v[111:112]
	;; [unrolled: 1-line block ×3, first 2 shown]
	s_delay_alu instid0(VALU_DEP_4) | instskip(NEXT) | instid1(VALU_DEP_3)
	v_add_f64_e32 v[32:33], v[8:9], v[32:33]
	v_add_f64_e32 v[180:181], v[52:53], v[186:187]
	s_delay_alu instid0(VALU_DEP_3) | instskip(NEXT) | instid1(VALU_DEP_3)
	v_fma_f64 v[186:187], v[111:112], s[16:17], -v[109:110]
	v_add_f64_e32 v[178:179], v[4:5], v[32:33]
	ds_store_2addr_b64 v152, v[172:173], v[156:157] offset0:4 offset1:5
	ds_store_2addr_b64 v152, v[158:159], v[176:177] offset0:6 offset1:7
	;; [unrolled: 1-line block ×4, first 2 shown]
	ds_store_2addr_b64 v152, v[178:179], v[153:154] offset1:1
	ds_store_2addr_b64 v152, v[170:171], v[162:163] offset0:2 offset1:3
	ds_store_b64 v152, v[104:105] offset:96
	v_add_f64_e32 v[164:165], v[40:41], v[180:181]
	v_add_f64_e32 v[32:33], v[186:187], v[106:107]
	s_delay_alu instid0(VALU_DEP_2)
	v_add_f64_e32 v[106:107], v[36:37], v[164:165]
	s_and_saveexec_b32 s0, s1
	s_cbranch_execz .LBB0_16
; %bb.15:
	v_mul_f64_e32 v[153:154], s[36:37], v[148:149]
	v_mul_f64_e32 v[155:156], s[18:19], v[148:149]
	;; [unrolled: 1-line block ×17, first 2 shown]
	v_add_nc_u32_e32 v127, 0xff8, v152
	v_add_nc_u32_e32 v129, 0x1008, v152
	v_fma_f64 v[173:174], v[146:147], s[16:17], v[153:154]
	v_fma_f64 v[153:154], v[146:147], s[16:17], -v[153:154]
	v_fma_f64 v[175:176], v[146:147], s[10:11], v[155:156]
	v_fma_f64 v[177:178], v[146:147], s[14:15], -v[157:158]
	v_fma_f64 v[179:180], v[146:147], s[22:23], -v[159:160]
	;; [unrolled: 1-line block ×4, first 2 shown]
	v_fma_f64 v[148:149], v[146:147], s[4:5], v[148:149]
	v_fma_f64 v[157:158], v[146:147], s[14:15], v[157:158]
	;; [unrolled: 1-line block ×3, first 2 shown]
	v_add_f64_e32 v[140:141], v[140:141], v[161:162]
	v_mul_f64_e32 v[159:160], s[14:15], v[123:124]
	v_mul_f64_e32 v[161:162], s[18:19], v[142:143]
	;; [unrolled: 1-line block ×3, first 2 shown]
	v_fma_f64 v[189:190], v[138:139], s[12:13], v[163:164]
	v_fma_f64 v[163:164], v[138:139], s[12:13], -v[163:164]
	v_fma_f64 v[191:192], v[138:139], s[14:15], v[165:166]
	v_fma_f64 v[165:166], v[138:139], s[14:15], -v[165:166]
	;; [unrolled: 2-line block ×5, first 2 shown]
	v_add_f64_e32 v[134:135], v[134:135], v[171:172]
	v_fma_f64 v[205:206], v[123:124], s[22:23], v[183:184]
	v_fma_f64 v[183:184], v[123:124], s[22:23], -v[183:184]
	v_fma_f64 v[207:208], v[123:124], s[12:13], v[185:186]
	v_fma_f64 v[185:186], v[123:124], s[12:13], -v[185:186]
	;; [unrolled: 2-line block ×3, first 2 shown]
	v_add_f64_e32 v[150:151], v[0:1], v[173:174]
	v_add_f64_e32 v[153:154], v[0:1], v[153:154]
	;; [unrolled: 1-line block ×11, first 2 shown]
	v_mul_f64_e32 v[140:141], s[4:5], v[125:126]
	v_mul_f64_e32 v[179:180], s[38:39], v[144:145]
	;; [unrolled: 1-line block ×4, first 2 shown]
	v_fma_f64 v[203:204], v[123:124], s[10:11], v[161:162]
	v_fma_f64 v[161:162], v[123:124], s[10:11], -v[161:162]
	v_fma_f64 v[211:212], v[123:124], s[16:17], v[142:143]
	v_fma_f64 v[123:124], v[123:124], s[16:17], -v[142:143]
	v_add_f64_e32 v[117:118], v[117:118], v[159:160]
	v_add_f64_e32 v[142:143], v[189:190], v[150:151]
	;; [unrolled: 1-line block ×12, first 2 shown]
	v_mul_f64_e32 v[134:135], s[10:11], v[115:116]
	v_mul_f64_e32 v[165:166], s[42:43], v[136:137]
	;; [unrolled: 1-line block ×6, first 2 shown]
	v_fma_f64 v[173:174], v[125:126], s[22:23], v[179:180]
	v_fma_f64 v[175:176], v[125:126], s[22:23], -v[179:180]
	v_fma_f64 v[177:178], v[125:126], s[16:17], v[181:182]
	v_fma_f64 v[179:180], v[125:126], s[16:17], -v[181:182]
	;; [unrolled: 2-line block ×5, first 2 shown]
	v_add_f64_e32 v[121:122], v[121:122], v[140:141]
	v_add_f64_e32 v[140:141], v[203:204], v[142:143]
	;; [unrolled: 1-line block ×12, first 2 shown]
	v_mul_f64_e32 v[117:118], s[16:17], v[111:112]
	v_mul_f64_e32 v[157:158], s[24:25], v[119:120]
	;; [unrolled: 1-line block ×6, first 2 shown]
	v_fma_f64 v[183:184], v[115:116], s[4:5], v[165:166]
	v_fma_f64 v[165:166], v[115:116], s[4:5], -v[165:166]
	v_fma_f64 v[185:186], v[115:116], s[12:13], v[167:168]
	v_fma_f64 v[167:168], v[115:116], s[12:13], -v[167:168]
	;; [unrolled: 2-line block ×5, first 2 shown]
	v_add_f64_e32 v[113:114], v[113:114], v[134:135]
	v_add_f64_e32 v[134:135], v[173:174], v[140:141]
	;; [unrolled: 1-line block ×13, first 2 shown]
	v_fma_f64 v[121:122], v[111:112], s[14:15], v[157:158]
	v_fma_f64 v[150:151], v[111:112], s[14:15], -v[157:158]
	v_fma_f64 v[153:154], v[111:112], s[4:5], v[159:160]
	v_fma_f64 v[155:156], v[111:112], s[4:5], -v[159:160]
	v_fma_f64 v[157:158], v[111:112], s[22:23], v[161:162]
	v_fma_f64 v[159:160], v[111:112], s[22:23], -v[161:162]
	v_fma_f64 v[161:162], v[111:112], s[10:11], v[163:164]
	v_fma_f64 v[163:164], v[111:112], s[10:11], -v[163:164]
	v_fma_f64 v[173:174], v[111:112], s[12:13], v[119:120]
	v_fma_f64 v[111:112], v[111:112], s[12:13], -v[119:120]
	v_add_f64_e32 v[117:118], v[183:184], v[134:135]
	v_add_f64_e32 v[119:120], v[165:166], v[136:137]
	;; [unrolled: 1-line block ×22, first 2 shown]
	v_add_nc_u32_e32 v109, 0xfd8, v152
	v_add_nc_u32_e32 v110, 0xfe8, v152
	;; [unrolled: 1-line block ×4, first 2 shown]
	ds_store_2addr_b64 v109, v[106:107], v[32:33] offset1:1
	ds_store_2addr_b64 v110, v[111:112], v[134:135] offset1:1
	;; [unrolled: 1-line block ×6, first 2 shown]
	ds_store_b64 v152, v[0:1] offset:4152
.LBB0_16:
	s_wait_alu 0xfffe
	s_or_b32 exec_lo, exec_lo, s0
	v_lshlrev_b32_e32 v129, 3, v108
	v_lshlrev_b32_e32 v1, 3, v128
	global_wb scope:SCOPE_SE
	s_wait_dscnt 0x0
	s_wait_kmcnt 0x0
	s_barrier_signal -1
	s_barrier_wait -1
	global_inv scope:SCOPE_SE
	v_add3_u32 v138, 0, v1, v129
	v_add3_u32 v139, 0, v129, v1
	v_cmp_gt_u32_e64 s0, 26, v128
	s_delay_alu instid0(VALU_DEP_3)
	v_add_nc_u32_e32 v124, 0x800, v138
	v_add_nc_u32_e32 v0, 0x400, v138
	ds_load_2addr_b64 v[108:111], v138 offset0:117 offset1:182
	ds_load_2addr_b64 v[112:115], v138 offset0:39 offset1:78
	ds_load_2addr_b64 v[116:119], v124 offset0:43 offset1:108
	ds_load_2addr_b64 v[120:123], v0 offset0:93 offset1:132
	ds_load_2addr_b64 v[124:127], v124 offset0:147 offset1:186
	ds_load_b64 v[134:135], v139
	ds_load_b64 v[136:137], v138 offset:3848
	s_and_saveexec_b32 s4, s0
	s_cbranch_execz .LBB0_18
; %bb.17:
	ds_load_2addr_b64 v[104:107], v0 offset0:28 offset1:210
	ds_load_b64 v[32:33], v138 offset:4160
.LBB0_18:
	s_wait_alu 0xfffe
	s_or_b32 exec_lo, exec_lo, s4
	v_add_f64_e32 v[0:1], v[86:87], v[34:35]
	v_add_f64_e32 v[140:141], v[102:103], v[2:3]
	v_add_f64_e64 v[4:5], v[84:85], -v[4:5]
	v_add_f64_e32 v[142:143], v[6:7], v[86:87]
	v_add_f64_e64 v[86:87], v[100:101], -v[36:37]
	s_mov_b32 s28, 0x4267c47c
	s_mov_b32 s30, 0x42a4c3d2
	;; [unrolled: 1-line block ×12, first 2 shown]
	v_add_f64_e64 v[8:9], v[76:77], -v[8:9]
	v_add_f64_e64 v[76:77], v[88:89], -v[40:41]
	s_mov_b32 s10, 0x1ea71119
	s_mov_b32 s4, 0xebaa3ed8
	;; [unrolled: 1-line block ×12, first 2 shown]
	s_wait_alu 0xfffe
	s_mov_b32 s38, s24
	s_mov_b32 s22, s36
	v_add_f64_e64 v[68:69], v[68:69], -v[12:13]
	v_add_f64_e64 v[24:25], v[72:73], -v[24:25]
	v_add_f64_e32 v[72:73], v[30:31], v[66:67]
	v_add_f64_e32 v[12:13], v[54:55], v[98:99]
	s_mov_b32 s43, 0x3fedeba7
	v_add_f64_e32 v[0:1], v[78:79], v[0:1]
	v_add_f64_e32 v[140:141], v[90:91], v[140:141]
	v_mul_f64_e32 v[40:41], s[28:29], v[4:5]
	v_mul_f64_e32 v[88:89], s[30:31], v[4:5]
	;; [unrolled: 1-line block ×7, first 2 shown]
	s_mov_b32 s29, 0x3fddbe06
	s_mov_b32 s42, s20
	;; [unrolled: 1-line block ×6, first 2 shown]
	global_wb scope:SCOPE_SE
	s_wait_dscnt 0x0
	s_barrier_signal -1
	v_mul_f64_e32 v[148:149], s[40:41], v[8:9]
	s_wait_alu 0xfffe
	v_mul_f64_e32 v[150:151], s[38:39], v[8:9]
	v_mul_f64_e32 v[153:154], s[22:23], v[8:9]
	s_barrier_wait -1
	global_inv scope:SCOPE_SE
	v_mul_f64_e32 v[169:170], s[28:29], v[68:69]
	v_mul_f64_e32 v[171:172], s[30:31], v[68:69]
	;; [unrolled: 1-line block ×5, first 2 shown]
	v_add_f64_e32 v[0:1], v[70:71], v[0:1]
	v_add_f64_e32 v[140:141], v[98:99], v[140:141]
	v_fma_f64 v[98:99], v[142:143], s[12:13], -v[40:41]
	v_fma_f64 v[155:156], v[142:143], s[10:11], v[88:89]
	v_fma_f64 v[88:89], v[142:143], s[10:11], -v[88:89]
	v_fma_f64 v[157:158], v[142:143], s[14:15], v[100:101]
	;; [unrolled: 2-line block ×3, first 2 shown]
	v_fma_f64 v[161:162], v[142:143], s[18:19], v[146:147]
	v_fma_f64 v[146:147], v[142:143], s[18:19], -v[146:147]
	v_fma_f64 v[144:145], v[142:143], s[16:17], -v[144:145]
	;; [unrolled: 1-line block ×3, first 2 shown]
	v_add_f64_e32 v[70:71], v[14:15], v[70:71]
	v_add_f64_e32 v[0:1], v[74:75], v[0:1]
	v_add_f64_e32 v[36:37], v[94:95], v[140:141]
	v_add_f64_e32 v[140:141], v[10:11], v[78:79]
	v_add_f64_e32 v[78:79], v[38:39], v[102:103]
	v_add_f64_e64 v[102:103], v[64:65], -v[28:29]
	v_mul_f64_e32 v[28:29], s[20:21], v[8:9]
	v_mul_f64_e32 v[64:65], s[30:31], v[76:77]
	v_add_f64_e32 v[98:99], v[34:35], v[98:99]
	v_add_f64_e32 v[155:156], v[34:35], v[155:156]
	v_add_f64_e32 v[88:89], v[34:35], v[88:89]
	v_add_f64_e32 v[157:158], v[34:35], v[157:158]
	v_add_f64_e32 v[100:101], v[34:35], v[100:101]
	v_add_f64_e32 v[159:160], v[34:35], v[159:160]
	v_add_f64_e32 v[146:147], v[34:35], v[146:147]
	v_add_f64_e32 v[161:162], v[34:35], v[161:162]
	v_add_f64_e32 v[144:145], v[34:35], v[144:145]
	v_add_f64_e32 v[163:164], v[34:35], v[163:164]
	v_add_f64_e32 v[74:75], v[26:27], v[74:75]
	v_fma_f64 v[199:200], v[70:71], s[12:13], v[169:170]
	v_fma_f64 v[169:170], v[70:71], s[12:13], -v[169:170]
	v_fma_f64 v[201:202], v[70:71], s[10:11], v[171:172]
	v_fma_f64 v[171:172], v[70:71], s[10:11], -v[171:172]
	v_add_f64_e32 v[0:1], v[66:67], v[0:1]
	v_add_f64_e32 v[36:37], v[58:59], v[36:37]
	v_add_f64_e64 v[66:67], v[96:97], -v[52:53]
	v_mul_f64_e32 v[96:97], s[30:31], v[8:9]
	v_add_f64_e32 v[52:53], v[42:43], v[90:91]
	v_mul_f64_e32 v[8:9], s[28:29], v[8:9]
	v_fma_f64 v[90:91], v[142:143], s[12:13], v[40:41]
	v_fma_f64 v[142:143], v[142:143], s[4:5], v[4:5]
	v_fma_f64 v[165:166], v[78:79], s[12:13], v[84:85]
	v_add_f64_e32 v[4:5], v[62:63], v[94:95]
	v_mul_f64_e32 v[94:95], s[42:43], v[68:69]
	v_fma_f64 v[175:176], v[140:141], s[14:15], v[28:29]
	v_fma_f64 v[177:178], v[140:141], s[14:15], -v[28:29]
	v_fma_f64 v[179:180], v[140:141], s[18:19], v[148:149]
	v_fma_f64 v[148:149], v[140:141], s[18:19], -v[148:149]
	;; [unrolled: 2-line block ×4, first 2 shown]
	v_add_f64_e64 v[28:29], v[56:57], -v[80:81]
	v_mul_f64_e32 v[56:57], s[20:21], v[24:25]
	v_mul_f64_e32 v[80:81], s[38:39], v[24:25]
	;; [unrolled: 1-line block ×3, first 2 shown]
	v_add_f64_e32 v[0:1], v[18:19], v[0:1]
	v_add_f64_e32 v[167:168], v[46:47], v[36:37]
	v_add_f64_e64 v[36:37], v[92:93], -v[60:61]
	v_mul_f64_e32 v[60:61], s[36:37], v[68:69]
	v_mul_f64_e32 v[92:93], s[40:41], v[68:69]
	;; [unrolled: 1-line block ×4, first 2 shown]
	v_fma_f64 v[173:174], v[140:141], s[10:11], v[96:97]
	v_fma_f64 v[96:97], v[140:141], s[10:11], -v[96:97]
	v_fma_f64 v[185:186], v[140:141], s[12:13], v[8:9]
	v_fma_f64 v[8:9], v[140:141], s[12:13], -v[8:9]
	v_fma_f64 v[140:141], v[52:53], s[10:11], v[64:65]
	v_add_f64_e32 v[90:91], v[34:35], v[90:91]
	v_add_f64_e32 v[142:143], v[34:35], v[142:143]
	;; [unrolled: 1-line block ×3, first 2 shown]
	v_fma_f64 v[197:198], v[70:71], s[14:15], v[94:95]
	v_fma_f64 v[94:95], v[70:71], s[14:15], -v[94:95]
	v_add_f64_e32 v[88:89], v[177:178], v[88:89]
	v_add_f64_e32 v[100:101], v[150:151], v[100:101]
	;; [unrolled: 1-line block ×5, first 2 shown]
	v_add_f64_e64 v[153:154], v[16:17], -v[20:21]
	v_add_f64_e64 v[16:17], v[44:45], -v[48:49]
	v_mul_f64_e32 v[44:45], s[24:25], v[102:103]
	v_mul_f64_e32 v[48:49], s[22:23], v[102:103]
	;; [unrolled: 1-line block ×4, first 2 shown]
	v_fma_f64 v[163:164], v[74:75], s[16:17], v[80:81]
	v_fma_f64 v[80:81], v[74:75], s[16:17], -v[80:81]
	v_fma_f64 v[177:178], v[74:75], s[18:19], v[191:192]
	v_add_f64_e32 v[0:1], v[22:23], v[0:1]
	v_add_f64_e32 v[167:168], v[50:51], v[167:168]
	v_mul_f64_e32 v[34:35], s[20:21], v[36:37]
	v_fma_f64 v[193:194], v[70:71], s[4:5], v[60:61]
	v_fma_f64 v[60:61], v[70:71], s[4:5], -v[60:61]
	v_fma_f64 v[195:196], v[70:71], s[18:19], v[92:93]
	v_fma_f64 v[92:93], v[70:71], s[18:19], -v[92:93]
	;; [unrolled: 2-line block ×3, first 2 shown]
	v_fma_f64 v[70:71], v[12:13], s[4:5], v[40:41]
	v_add_f64_e32 v[96:97], v[96:97], v[98:99]
	v_add_f64_e32 v[98:99], v[175:176], v[155:156]
	;; [unrolled: 1-line block ×8, first 2 shown]
	v_mul_f64_e32 v[58:59], s[30:31], v[102:103]
	v_fma_f64 v[161:162], v[74:75], s[14:15], v[56:57]
	v_fma_f64 v[56:57], v[74:75], s[14:15], -v[56:57]
	v_fma_f64 v[165:166], v[74:75], s[12:13], v[187:188]
	v_fma_f64 v[173:174], v[74:75], s[4:5], v[189:190]
	v_fma_f64 v[175:176], v[74:75], s[4:5], -v[189:190]
	v_fma_f64 v[181:182], v[74:75], s[10:11], v[24:25]
	v_fma_f64 v[24:25], v[74:75], s[10:11], -v[24:25]
	v_add_f64_e32 v[144:145], v[171:172], v[144:145]
	v_add_f64_e32 v[94:95], v[94:95], v[148:149]
	v_mul_f64_e32 v[148:149], s[22:23], v[153:154]
	v_fma_f64 v[171:172], v[72:73], s[12:13], v[159:160]
	v_fma_f64 v[159:160], v[72:73], s[12:13], -v[159:160]
	v_add_f64_e32 v[0:1], v[30:31], v[0:1]
	v_add_f64_e32 v[30:31], v[179:180], v[142:143]
	;; [unrolled: 1-line block ×3, first 2 shown]
	v_mul_f64_e32 v[82:83], s[34:35], v[102:103]
	v_mul_f64_e32 v[102:103], s[20:21], v[102:103]
	v_fma_f64 v[167:168], v[74:75], s[12:13], -v[187:188]
	v_fma_f64 v[179:180], v[74:75], s[18:19], -v[191:192]
	v_fma_f64 v[74:75], v[4:5], s[14:15], v[34:35]
	v_add_f64_e32 v[88:89], v[92:93], v[88:89]
	v_add_f64_e32 v[60:61], v[60:61], v[96:97]
	;; [unrolled: 1-line block ×9, first 2 shown]
	v_mul_f64_e32 v[146:147], s[20:21], v[153:154]
	v_fma_f64 v[155:156], v[72:73], s[4:5], v[48:49]
	v_fma_f64 v[48:49], v[72:73], s[4:5], -v[48:49]
	v_fma_f64 v[157:158], v[72:73], s[10:11], v[58:59]
	v_fma_f64 v[58:59], v[72:73], s[10:11], -v[58:59]
	v_add_f64_e32 v[0:1], v[26:27], v[0:1]
	v_add_f64_e32 v[26:27], v[197:198], v[30:31]
	;; [unrolled: 1-line block ×6, first 2 shown]
	v_mul_f64_e32 v[46:47], s[40:41], v[153:154]
	v_mul_f64_e32 v[50:51], s[28:29], v[153:154]
	;; [unrolled: 1-line block ×5, first 2 shown]
	v_fma_f64 v[153:154], v[72:73], s[16:17], v[44:45]
	v_fma_f64 v[44:45], v[72:73], s[16:17], -v[44:45]
	v_fma_f64 v[169:170], v[72:73], s[18:19], v[82:83]
	v_fma_f64 v[82:83], v[72:73], s[18:19], -v[82:83]
	;; [unrolled: 2-line block ×3, first 2 shown]
	v_fma_f64 v[102:103], v[8:9], s[16:17], v[20:21]
	v_add_f64_e32 v[90:91], v[161:162], v[90:91]
	v_add_f64_e32 v[56:57], v[56:57], v[60:61]
	;; [unrolled: 1-line block ×15, first 2 shown]
	v_fma_f64 v[144:145], v[70:71], s[14:15], v[146:147]
	v_fma_f64 v[146:147], v[70:71], s[14:15], -v[146:147]
	v_fma_f64 v[54:55], v[70:71], s[18:19], v[46:47]
	v_fma_f64 v[46:47], v[70:71], s[18:19], -v[46:47]
	;; [unrolled: 2-line block ×6, first 2 shown]
	v_fma_f64 v[148:149], v[18:19], s[18:19], v[22:23]
	v_add_f64_e32 v[90:91], v[153:154], v[90:91]
	v_add_f64_e32 v[44:45], v[44:45], v[56:57]
	v_add_f64_e32 v[56:57], v[155:156], v[60:61]
	v_add_f64_e32 v[48:49], v[48:49], v[80:81]
	v_add_f64_e32 v[60:61], v[169:170], v[88:89]
	v_add_f64_e32 v[80:81], v[82:83], v[92:93]
	v_add_f64_e32 v[82:83], v[171:172], v[96:97]
	v_add_f64_e32 v[24:25], v[72:73], v[24:25]
	v_add_f64_e32 v[88:89], v[183:184], v[98:99]
	v_add_f64_e32 v[68:69], v[159:160], v[68:69]
	v_add_f64_e32 v[58:59], v[58:59], v[94:95]
	v_add_f64_e32 v[10:11], v[10:11], v[0:1]
	v_add_f64_e32 v[14:15], v[157:158], v[14:15]
	v_add_f64_e32 v[26:27], v[102:103], v[26:27]
	v_add_f64_e32 v[30:31], v[42:43], v[30:31]
	v_add_f64_e32 v[42:43], v[54:55], v[90:91]
	v_add_f64_e32 v[0:1], v[46:47], v[44:45]
	v_add_f64_e32 v[44:45], v[62:63], v[56:57]
	v_add_f64_e32 v[46:47], v[50:51], v[48:49]
	v_add_f64_e32 v[48:49], v[140:141], v[60:61]
	v_add_f64_e32 v[50:51], v[142:143], v[80:81]
	v_add_f64_e32 v[54:55], v[144:145], v[82:83]
	v_add_f64_e32 v[60:61], v[70:71], v[24:25]
	v_add_f64_e32 v[56:57], v[150:151], v[88:89]
	v_add_f64_e32 v[62:63], v[146:147], v[68:69]
	v_add_f64_e32 v[58:59], v[100:101], v[58:59]
	v_add_f64_e32 v[6:7], v[6:7], v[10:11]
	v_add_f64_e32 v[10:11], v[74:75], v[14:15]
	v_add_f64_e32 v[24:25], v[148:149], v[26:27]
	v_add_f64_e32 v[26:27], v[38:39], v[30:31]
	v_add_nc_u32_e32 v38, 39, v128
	ds_store_2addr_b64 v152, v[48:49], v[54:55] offset0:4 offset1:5
	ds_store_2addr_b64 v152, v[56:57], v[60:61] offset0:6 offset1:7
	;; [unrolled: 1-line block ×4, first 2 shown]
	ds_store_2addr_b64 v152, v[6:7], v[42:43] offset1:1
	ds_store_2addr_b64 v152, v[44:45], v[10:11] offset0:2 offset1:3
	ds_store_b64 v152, v[0:1] offset:96
	s_and_saveexec_b32 s33, s1
	s_cbranch_execz .LBB0_20
; %bb.19:
	v_mul_f64_e32 v[6:7], s[30:31], v[86:87]
	v_mul_f64_e32 v[10:11], s[36:37], v[86:87]
	;; [unrolled: 1-line block ×19, first 2 shown]
	v_fma_f64 v[60:61], v[78:79], s[10:11], v[6:7]
	v_fma_f64 v[6:7], v[78:79], s[10:11], -v[6:7]
	v_fma_f64 v[62:63], v[78:79], s[4:5], v[10:11]
	v_fma_f64 v[68:69], v[78:79], s[14:15], v[14:15]
	v_fma_f64 v[14:15], v[78:79], s[14:15], -v[14:15]
	v_fma_f64 v[70:71], v[78:79], s[16:17], v[30:31]
	v_fma_f64 v[72:73], v[78:79], s[18:19], v[42:43]
	v_fma_f64 v[42:43], v[78:79], s[18:19], -v[42:43]
	v_fma_f64 v[30:31], v[78:79], s[16:17], -v[30:31]
	;; [unrolled: 1-line block ×3, first 2 shown]
	v_add_f64_e64 v[44:45], v[44:45], -v[84:85]
	v_mul_f64_e32 v[78:79], s[42:43], v[66:67]
	v_add_f64_e64 v[46:47], v[46:47], -v[64:65]
	v_fma_f64 v[64:65], v[52:53], s[14:15], v[48:49]
	v_fma_f64 v[48:49], v[52:53], s[14:15], -v[48:49]
	v_fma_f64 v[84:85], v[52:53], s[18:19], v[50:51]
	v_fma_f64 v[50:51], v[52:53], s[18:19], -v[50:51]
	;; [unrolled: 2-line block ×5, first 2 shown]
	v_mul_f64_e32 v[66:67], s[24:25], v[66:67]
	v_add_f64_e64 v[39:40], v[74:75], -v[40:41]
	v_fma_f64 v[74:75], v[12:13], s[18:19], v[76:77]
	v_fma_f64 v[100:101], v[12:13], s[12:13], v[80:81]
	;; [unrolled: 1-line block ×3, first 2 shown]
	v_fma_f64 v[76:77], v[12:13], s[18:19], -v[76:77]
	v_fma_f64 v[80:81], v[12:13], s[12:13], -v[80:81]
	;; [unrolled: 1-line block ×3, first 2 shown]
	v_add_f64_e32 v[58:59], v[2:3], v[60:61]
	v_add_f64_e32 v[6:7], v[2:3], v[6:7]
	v_add_f64_e32 v[60:61], v[2:3], v[62:63]
	v_add_f64_e32 v[62:63], v[2:3], v[68:69]
	v_add_f64_e32 v[14:15], v[2:3], v[14:15]
	v_add_f64_e32 v[68:69], v[2:3], v[70:71]
	v_add_f64_e32 v[70:71], v[2:3], v[72:73]
	v_add_f64_e32 v[42:43], v[2:3], v[42:43]
	v_add_f64_e32 v[30:31], v[2:3], v[30:31]
	v_add_f64_e32 v[10:11], v[2:3], v[10:11]
	v_add_f64_e32 v[2:3], v[2:3], v[44:45]
	v_mul_f64_e32 v[44:45], s[14:15], v[4:5]
	v_mul_f64_e32 v[72:73], s[38:39], v[36:37]
	;; [unrolled: 1-line block ×3, first 2 shown]
	v_fma_f64 v[98:99], v[12:13], s[14:15], v[78:79]
	v_fma_f64 v[78:79], v[12:13], s[14:15], -v[78:79]
	v_fma_f64 v[140:141], v[12:13], s[16:17], v[66:67]
	v_fma_f64 v[12:13], v[12:13], s[16:17], -v[66:67]
	v_add_f64_e32 v[58:59], v[64:65], v[58:59]
	v_add_f64_e32 v[6:7], v[48:49], v[6:7]
	;; [unrolled: 1-line block ×11, first 2 shown]
	v_mul_f64_e32 v[46:47], s[16:17], v[8:9]
	v_mul_f64_e32 v[50:51], s[22:23], v[28:29]
	;; [unrolled: 1-line block ×6, first 2 shown]
	v_add_f64_e64 v[34:35], v[44:45], -v[34:35]
	v_fma_f64 v[43:44], v[4:5], s[16:17], v[72:73]
	v_fma_f64 v[66:67], v[4:5], s[16:17], -v[72:73]
	v_fma_f64 v[68:69], v[4:5], s[12:13], v[92:93]
	v_fma_f64 v[70:71], v[4:5], s[12:13], -v[92:93]
	v_fma_f64 v[72:73], v[4:5], s[4:5], v[94:95]
	v_fma_f64 v[84:85], v[4:5], s[4:5], -v[94:95]
	v_fma_f64 v[86:87], v[4:5], s[18:19], v[96:97]
	v_fma_f64 v[88:89], v[4:5], s[18:19], -v[96:97]
	v_fma_f64 v[90:91], v[4:5], s[10:11], v[36:37]
	v_fma_f64 v[4:5], v[4:5], s[10:11], -v[36:37]
	v_add_f64_e32 v[36:37], v[74:75], v[58:59]
	v_add_f64_e32 v[6:7], v[76:77], v[6:7]
	;; [unrolled: 1-line block ×11, first 2 shown]
	v_mul_f64_e32 v[39:40], s[18:19], v[18:19]
	v_mul_f64_e32 v[41:42], s[28:29], v[16:17]
	;; [unrolled: 1-line block ×6, first 2 shown]
	v_add_f64_e64 v[20:21], v[46:47], -v[20:21]
	v_fma_f64 v[45:46], v[8:9], s[4:5], v[50:51]
	v_fma_f64 v[50:51], v[8:9], s[4:5], -v[50:51]
	v_fma_f64 v[78:79], v[8:9], s[10:11], v[52:53]
	v_fma_f64 v[52:53], v[8:9], s[10:11], -v[52:53]
	;; [unrolled: 2-line block ×5, first 2 shown]
	v_add_f64_e32 v[28:29], v[43:44], v[36:37]
	v_add_f64_e32 v[6:7], v[66:67], v[6:7]
	;; [unrolled: 1-line block ×11, first 2 shown]
	v_add_f64_e64 v[22:23], v[39:40], -v[22:23]
	v_fma_f64 v[30:31], v[18:19], s[12:13], v[41:42]
	v_fma_f64 v[34:35], v[18:19], s[12:13], -v[41:42]
	v_fma_f64 v[39:40], v[18:19], s[16:17], v[62:63]
	v_fma_f64 v[41:42], v[18:19], s[16:17], -v[62:63]
	;; [unrolled: 2-line block ×5, first 2 shown]
	v_add_f64_e32 v[18:19], v[45:46], v[28:29]
	v_add_f64_e32 v[6:7], v[50:51], v[6:7]
	v_add_f64_e32 v[28:29], v[78:79], v[36:37]
	v_add_f64_e32 v[36:37], v[80:81], v[43:44]
	v_add_f64_e32 v[14:15], v[56:57], v[14:15]
	v_add_f64_e32 v[43:44], v[82:83], v[47:48]
	v_add_f64_e32 v[45:46], v[92:93], v[54:55]
	v_add_f64_e32 v[4:5], v[8:9], v[4:5]
	v_add_f64_e32 v[8:9], v[64:65], v[12:13]
	v_add_f64_e32 v[10:11], v[52:53], v[10:11]
	v_add_f64_e32 v[2:3], v[20:21], v[2:3]
	v_add_f64_e32 v[12:13], v[30:31], v[18:19]
	v_add_f64_e32 v[6:7], v[34:35], v[6:7]
	v_add_f64_e32 v[18:19], v[39:40], v[28:29]
	v_add_f64_e32 v[20:21], v[58:59], v[36:37]
	v_add_f64_e32 v[14:15], v[60:61], v[14:15]
	v_add_f64_e32 v[28:29], v[62:63], v[43:44]
	v_add_f64_e32 v[30:31], v[68:69], v[45:46]
	v_add_f64_e32 v[4:5], v[16:17], v[4:5]
	v_add_f64_e32 v[8:9], v[66:67], v[8:9]
	v_add_f64_e32 v[10:11], v[41:42], v[10:11]
	v_add_f64_e32 v[2:3], v[22:23], v[2:3]
	v_mul_u32_u24_e32 v16, 0x68, v38
	s_delay_alu instid0(VALU_DEP_1)
	v_add3_u32 v16, 0, v16, v129
	ds_store_2addr_b64 v16, v[26:27], v[24:25] offset1:1
	ds_store_2addr_b64 v16, v[12:13], v[18:19] offset0:2 offset1:3
	ds_store_2addr_b64 v16, v[20:21], v[28:29] offset0:4 offset1:5
	;; [unrolled: 1-line block ×5, first 2 shown]
	ds_store_b64 v16, v[2:3] offset:96
.LBB0_20:
	s_or_b32 exec_lo, exec_lo, s33
	v_add_nc_u32_e32 v3, 0x800, v138
	v_add_nc_u32_e32 v2, 0x400, v138
	global_wb scope:SCOPE_SE
	s_wait_dscnt 0x0
	s_barrier_signal -1
	s_barrier_wait -1
	global_inv scope:SCOPE_SE
	ds_load_2addr_b64 v[4:7], v138 offset0:117 offset1:182
	ds_load_2addr_b64 v[12:15], v3 offset0:43 offset1:108
	;; [unrolled: 1-line block ×5, first 2 shown]
	ds_load_b64 v[28:29], v139
	ds_load_b64 v[30:31], v138 offset:3848
	s_and_saveexec_b32 s1, s0
	s_cbranch_execz .LBB0_22
; %bb.21:
	ds_load_2addr_b64 v[0:3], v2 offset0:28 offset1:210
	ds_load_b64 v[24:25], v138 offset:4160
	s_wait_dscnt 0x1
	v_dual_mov_b32 v27, v3 :: v_dual_mov_b32 v26, v2
.LBB0_22:
	s_wait_alu 0xfffe
	s_or_b32 exec_lo, exec_lo, s1
	v_add_nc_u16 v2, v128, 0x4e
	v_and_b32_e32 v3, 0xff, v128
	v_add_nc_u16 v34, v128, 0x75
	v_and_b32_e32 v35, 0xff, v38
	s_mov_b32 s4, 0xe8584caa
	v_and_b32_e32 v36, 0xff, v2
	v_mul_lo_u16 v3, 0x4f, v3
	v_and_b32_e32 v37, 0xff, v34
	v_mul_lo_u16 v35, 0x4f, v35
	s_mov_b32 s5, 0x3febb67a
	v_mul_lo_u16 v36, 0x4f, v36
	v_lshrrev_b16 v94, 10, v3
	v_mul_lo_u16 v3, 0x4f, v37
	v_lshrrev_b16 v95, 10, v35
	s_mov_b32 s11, 0xbfebb67a
	v_lshrrev_b16 v96, 10, v36
	v_mul_lo_u16 v35, v94, 13
	v_lshrrev_b16 v97, 10, v3
	v_mul_lo_u16 v3, v95, 13
	s_wait_alu 0xfffe
	s_mov_b32 s10, s4
	v_mul_lo_u16 v36, v96, 13
	v_sub_nc_u16 v35, v128, v35
	v_mul_lo_u16 v37, v97, 13
	v_sub_nc_u16 v3, v38, v3
	s_delay_alu instid0(VALU_DEP_4) | instskip(NEXT) | instid1(VALU_DEP_4)
	v_sub_nc_u16 v2, v2, v36
	v_and_b32_e32 v98, 0xff, v35
	s_delay_alu instid0(VALU_DEP_4) | instskip(NEXT) | instid1(VALU_DEP_4)
	v_sub_nc_u16 v34, v34, v37
	v_and_b32_e32 v99, 0xff, v3
	s_delay_alu instid0(VALU_DEP_4) | instskip(NEXT) | instid1(VALU_DEP_4)
	v_and_b32_e32 v100, 0xff, v2
	v_lshlrev_b32_e32 v2, 5, v98
	s_delay_alu instid0(VALU_DEP_4) | instskip(NEXT) | instid1(VALU_DEP_4)
	v_and_b32_e32 v101, 0xff, v34
	v_lshlrev_b32_e32 v3, 5, v99
	s_clause 0x1
	global_load_b128 v[50:53], v2, s[8:9] offset:16
	global_load_b128 v[54:57], v2, s[8:9]
	v_lshlrev_b32_e32 v34, 5, v100
	v_lshlrev_b32_e32 v2, 5, v101
	s_clause 0x5
	global_load_b128 v[58:61], v3, s[8:9]
	global_load_b128 v[62:65], v3, s[8:9] offset:16
	global_load_b128 v[66:69], v34, s[8:9]
	global_load_b128 v[70:73], v34, s[8:9] offset:16
	;; [unrolled: 2-line block ×3, first 2 shown]
	v_add_nc_u16 v2, v128, 0x9c
	s_delay_alu instid0(VALU_DEP_1) | instskip(NEXT) | instid1(VALU_DEP_1)
	v_and_b32_e32 v3, 0xff, v2
	v_mul_lo_u16 v3, 0x4f, v3
	s_delay_alu instid0(VALU_DEP_1) | instskip(NEXT) | instid1(VALU_DEP_1)
	v_lshrrev_b16 v102, 10, v3
	v_mul_lo_u16 v3, v102, 13
	s_delay_alu instid0(VALU_DEP_1) | instskip(NEXT) | instid1(VALU_DEP_1)
	v_sub_nc_u16 v2, v2, v3
	v_and_b32_e32 v103, 0xff, v2
	s_delay_alu instid0(VALU_DEP_1)
	v_lshlrev_b32_e32 v2, 5, v103
	s_clause 0x1
	global_load_b128 v[82:85], v2, s[8:9]
	global_load_b128 v[86:89], v2, s[8:9] offset:16
	global_wb scope:SCOPE_SE
	s_wait_loadcnt_dscnt 0x0
	s_barrier_signal -1
	s_barrier_wait -1
	global_inv scope:SCOPE_SE
	v_mul_f64_e32 v[36:37], v[20:21], v[60:61]
	v_mul_f64_e32 v[2:3], v[6:7], v[56:57]
	;; [unrolled: 1-line block ×16, first 2 shown]
	v_fma_f64 v[44:45], v[110:111], v[54:55], -v[2:3]
	v_fma_f64 v[46:47], v[118:119], v[50:51], -v[34:35]
	;; [unrolled: 1-line block ×8, first 2 shown]
	v_fma_f64 v[48:49], v[6:7], v[54:55], v[56:57]
	v_fma_f64 v[6:7], v[14:15], v[50:51], v[52:53]
	;; [unrolled: 1-line block ×8, first 2 shown]
	v_mul_f64_e32 v[56:57], v[26:27], v[84:85]
	v_mul_f64_e32 v[58:59], v[106:107], v[84:85]
	;; [unrolled: 1-line block ×4, first 2 shown]
	v_add_f64_e32 v[62:63], v[134:135], v[44:45]
	v_add_f64_e32 v[50:51], v[44:45], v[46:47]
	;; [unrolled: 1-line block ×8, first 2 shown]
	v_add_f64_e64 v[64:65], v[48:49], -v[6:7]
	v_add_f64_e64 v[74:75], v[20:21], -v[14:15]
	;; [unrolled: 1-line block ×4, first 2 shown]
	v_fma_f64 v[32:33], v[32:33], v[86:87], -v[60:61]
	v_fma_f64 v[72:73], v[50:51], -0.5, v[134:135]
	v_fma_f64 v[50:51], v[106:107], v[82:83], -v[56:57]
	v_fma_f64 v[52:53], v[52:53], -0.5, v[112:113]
	v_add_f64_e32 v[60:61], v[66:67], v[40:41]
	v_fma_f64 v[54:55], v[54:55], -0.5, v[114:115]
	v_add_f64_e32 v[66:67], v[70:71], v[38:39]
	v_fma_f64 v[80:81], v[30:31], -0.5, v[108:109]
	v_fma_f64 v[30:31], v[26:27], v[82:83], v[58:59]
	v_add_f64_e32 v[26:27], v[62:63], v[46:47]
	v_add_f64_e32 v[62:63], v[68:69], v[42:43]
	v_and_b32_e32 v56, 0xffff, v97
	v_lshlrev_b32_e32 v57, 3, v98
	v_lshlrev_b32_e32 v58, 3, v99
	v_fma_f64 v[68:69], v[64:65], s[4:5], v[72:73]
	s_wait_alu 0xfffe
	v_fma_f64 v[64:65], v[64:65], s[10:11], v[72:73]
	v_fma_f64 v[70:71], v[74:75], s[4:5], v[52:53]
	;; [unrolled: 1-line block ×8, first 2 shown]
	v_and_b32_e32 v24, 0xffff, v94
	v_and_b32_e32 v25, 0xffff, v95
	;; [unrolled: 1-line block ×3, first 2 shown]
	v_mad_u32_u24 v80, 0x138, v56, 0
	v_and_b32_e32 v54, 0xffff, v102
	v_mad_u32_u24 v24, 0x138, v24, 0
	v_mad_u32_u24 v25, 0x138, v25, 0
	;; [unrolled: 1-line block ×3, first 2 shown]
	v_lshlrev_b32_e32 v55, 3, v103
	s_delay_alu instid0(VALU_DEP_4) | instskip(NEXT) | instid1(VALU_DEP_4)
	v_add3_u32 v57, v24, v57, v129
	v_add3_u32 v56, v25, v58, v129
	v_lshlrev_b32_e32 v24, 3, v100
	v_lshlrev_b32_e32 v25, 3, v101
	s_delay_alu instid0(VALU_DEP_2) | instskip(NEXT) | instid1(VALU_DEP_2)
	v_add3_u32 v59, v59, v24, v129
	v_add3_u32 v58, v80, v25, v129
	ds_store_2addr_b64 v57, v[26:27], v[68:69] offset1:13
	ds_store_b64 v57, v[64:65] offset:208
	ds_store_2addr_b64 v56, v[60:61], v[70:71] offset1:13
	ds_store_b64 v56, v[72:73] offset:208
	;; [unrolled: 2-line block ×4, first 2 shown]
	s_and_saveexec_b32 s1, s0
	s_cbranch_execz .LBB0_24
; %bb.23:
	v_add_f64_e32 v[24:25], v[50:51], v[32:33]
	v_add_f64_e64 v[26:27], v[30:31], -v[52:53]
	v_add_f64_e32 v[60:61], v[104:105], v[50:51]
	s_delay_alu instid0(VALU_DEP_3) | instskip(NEXT) | instid1(VALU_DEP_2)
	v_fma_f64 v[24:25], v[24:25], -0.5, v[104:105]
	v_add_f64_e32 v[60:61], v[60:61], v[32:33]
	s_delay_alu instid0(VALU_DEP_2) | instskip(SKIP_2) | instid1(VALU_DEP_1)
	v_fma_f64 v[62:63], v[26:27], s[4:5], v[24:25]
	v_fma_f64 v[24:25], v[26:27], s[10:11], v[24:25]
	v_mad_u32_u24 v26, 0x138, v54, 0
	v_add3_u32 v26, v26, v55, v129
	ds_store_2addr_b64 v26, v[60:61], v[62:63] offset1:13
	ds_store_b64 v26, v[24:25] offset:208
.LBB0_24:
	s_wait_alu 0xfffe
	s_or_b32 exec_lo, exec_lo, s1
	v_add_f64_e32 v[24:25], v[48:49], v[6:7]
	v_add_f64_e32 v[26:27], v[20:21], v[14:15]
	;; [unrolled: 1-line block ×5, first 2 shown]
	v_add_f64_e64 v[44:45], v[44:45], -v[46:47]
	v_add_f64_e32 v[20:21], v[8:9], v[20:21]
	v_add_f64_e32 v[16:17], v[10:11], v[16:17]
	;; [unrolled: 1-line block ×3, first 2 shown]
	v_add_f64_e64 v[2:3], v[2:3], -v[38:39]
	global_wb scope:SCOPE_SE
	s_wait_dscnt 0x0
	s_barrier_signal -1
	s_barrier_wait -1
	global_inv scope:SCOPE_SE
	v_fma_f64 v[24:25], v[24:25], -0.5, v[28:29]
	v_add_f64_e64 v[28:29], v[34:35], -v[40:41]
	v_fma_f64 v[8:9], v[26:27], -0.5, v[8:9]
	v_add_f64_e64 v[26:27], v[36:37], -v[42:43]
	v_fma_f64 v[10:11], v[60:61], -0.5, v[10:11]
	v_fma_f64 v[4:5], v[62:63], -0.5, v[4:5]
	v_add_f64_e32 v[35:36], v[48:49], v[6:7]
	v_add_f64_e32 v[37:38], v[20:21], v[14:15]
	;; [unrolled: 1-line block ×4, first 2 shown]
	v_add_nc_u32_e32 v34, 0x800, v138
	v_fma_f64 v[46:47], v[44:45], s[10:11], v[24:25]
	v_fma_f64 v[43:44], v[44:45], s[4:5], v[24:25]
	;; [unrolled: 1-line block ×8, first 2 shown]
	ds_load_2addr_b64 v[2:5], v138 offset0:39 offset1:78
	ds_load_2addr_b64 v[18:21], v138 offset0:117 offset1:156
	;; [unrolled: 1-line block ×3, first 2 shown]
	ds_load_b64 v[26:27], v139
	ds_load_b64 v[28:29], v138 offset:4056
	ds_load_2addr_b64 v[10:13], v34 offset0:17 offset1:56
	ds_load_2addr_b64 v[6:9], v34 offset0:95 offset1:134
	;; [unrolled: 1-line block ×3, first 2 shown]
	global_wb scope:SCOPE_SE
	s_wait_dscnt 0x0
	s_barrier_signal -1
	s_barrier_wait -1
	global_inv scope:SCOPE_SE
	ds_store_2addr_b64 v57, v[35:36], v[46:47] offset1:13
	ds_store_b64 v57, v[43:44] offset:208
	ds_store_2addr_b64 v56, v[37:38], v[48:49] offset1:13
	ds_store_b64 v56, v[60:61] offset:208
	;; [unrolled: 2-line block ×4, first 2 shown]
	s_and_saveexec_b32 s1, s0
	s_cbranch_execz .LBB0_26
; %bb.25:
	v_add_f64_e32 v[35:36], v[30:31], v[52:53]
	v_add_f64_e64 v[32:33], v[50:51], -v[32:33]
	s_mov_b32 s5, 0xbfebb67a
	s_mov_b32 s4, 0xe8584caa
	s_delay_alu instid0(VALU_DEP_2) | instskip(SKIP_2) | instid1(VALU_DEP_2)
	v_fma_f64 v[35:36], v[35:36], -0.5, v[0:1]
	v_add_f64_e32 v[0:1], v[0:1], v[30:31]
	s_wait_alu 0xfffe
	v_fma_f64 v[30:31], v[32:33], s[4:5], v[35:36]
	s_mov_b32 s5, 0x3febb67a
	s_delay_alu instid0(VALU_DEP_2) | instskip(SKIP_3) | instid1(VALU_DEP_1)
	v_add_f64_e32 v[0:1], v[0:1], v[52:53]
	s_wait_alu 0xfffe
	v_fma_f64 v[32:33], v[32:33], s[4:5], v[35:36]
	v_mad_u32_u24 v35, 0x138, v54, 0
	v_add3_u32 v35, v35, v55, v129
	ds_store_2addr_b64 v35, v[0:1], v[30:31] offset1:13
	ds_store_b64 v35, v[32:33] offset:208
.LBB0_26:
	s_wait_alu 0xfffe
	s_or_b32 exec_lo, exec_lo, s1
	v_mul_u32_u24_e32 v0, 6, v128
	global_wb scope:SCOPE_SE
	s_wait_dscnt 0x0
	s_barrier_signal -1
	s_barrier_wait -1
	global_inv scope:SCOPE_SE
	v_lshlrev_b32_e32 v0, 4, v0
	s_mov_b32 s0, 0x37e14327
	s_mov_b32 s10, 0xe976ee23
	;; [unrolled: 1-line block ×4, first 2 shown]
	s_clause 0x5
	global_load_b128 v[30:33], v0, s[8:9] offset:416
	global_load_b128 v[35:38], v0, s[8:9] offset:432
	global_load_b128 v[39:42], v0, s[8:9] offset:496
	global_load_b128 v[43:46], v0, s[8:9] offset:480
	global_load_b128 v[47:50], v0, s[8:9] offset:448
	global_load_b128 v[51:54], v0, s[8:9] offset:464
	ds_load_2addr_b64 v[55:58], v138 offset0:39 offset1:78
	ds_load_2addr_b64 v[59:62], v138 offset0:117 offset1:156
	;; [unrolled: 1-line block ×5, first 2 shown]
	ds_load_b64 v[0:1], v138 offset:4056
	ds_load_2addr_b64 v[75:78], v34 offset0:17 offset1:56
	s_mov_b32 s11, 0xbfe11646
	s_mov_b32 s12, 0x429ad128
	;; [unrolled: 1-line block ×12, first 2 shown]
	s_wait_alu 0xfffe
	s_mov_b32 s18, s16
	s_mov_b32 s22, s20
	s_wait_loadcnt_dscnt 0x506
	v_mul_f64_e32 v[79:80], v[57:58], v[32:33]
	s_wait_loadcnt_dscnt 0x405
	v_mul_f64_e32 v[81:82], v[61:62], v[37:38]
	;; [unrolled: 2-line block ×4, first 2 shown]
	v_mul_f64_e32 v[87:88], v[59:60], v[32:33]
	s_wait_dscnt 0x2
	v_mul_f64_e32 v[89:90], v[71:72], v[37:38]
	s_wait_dscnt 0x1
	v_mul_f64_e32 v[91:92], v[0:1], v[41:42]
	v_mul_f64_e32 v[93:94], v[63:64], v[45:46]
	;; [unrolled: 1-line block ×10, first 2 shown]
	s_wait_loadcnt 0x1
	v_mul_f64_e32 v[99:100], v[73:74], v[49:50]
	v_mul_f64_e32 v[101:102], v[16:17], v[49:50]
	s_wait_loadcnt_dscnt 0x0
	v_mul_f64_e32 v[103:104], v[77:78], v[53:54]
	v_mul_f64_e32 v[109:110], v[12:13], v[53:54]
	;; [unrolled: 1-line block ×4, first 2 shown]
	v_fma_f64 v[4:5], v[4:5], v[30:31], -v[79:80]
	v_fma_f64 v[20:21], v[20:21], v[35:36], -v[81:82]
	;; [unrolled: 1-line block ×4, first 2 shown]
	v_mul_f64_e32 v[79:80], v[67:68], v[53:54]
	v_mul_f64_e32 v[53:54], v[6:7], v[53:54]
	v_fma_f64 v[18:19], v[18:19], v[30:31], -v[87:88]
	v_fma_f64 v[14:15], v[14:15], v[35:36], -v[89:90]
	;; [unrolled: 1-line block ×4, first 2 shown]
	v_fma_f64 v[57:58], v[57:58], v[30:31], v[95:96]
	v_fma_f64 v[61:62], v[61:62], v[35:36], v[97:98]
	;; [unrolled: 1-line block ×8, first 2 shown]
	v_fma_f64 v[16:17], v[16:17], v[47:48], -v[99:100]
	v_fma_f64 v[73:74], v[73:74], v[47:48], v[101:102]
	v_fma_f64 v[12:13], v[12:13], v[51:52], -v[103:104]
	v_fma_f64 v[37:38], v[77:78], v[51:52], v[109:110]
	;; [unrolled: 2-line block ×3, first 2 shown]
	ds_load_b64 v[75:76], v139
	global_wb scope:SCOPE_SE
	s_wait_dscnt 0x0
	s_barrier_signal -1
	s_barrier_wait -1
	global_inv scope:SCOPE_SE
	v_add_f64_e32 v[41:42], v[4:5], v[24:25]
	v_add_f64_e32 v[43:44], v[20:21], v[8:9]
	v_fma_f64 v[6:7], v[6:7], v[51:52], -v[79:80]
	v_fma_f64 v[45:46], v[67:68], v[51:52], v[53:54]
	v_add_f64_e64 v[8:9], v[20:21], -v[8:9]
	v_add_f64_e64 v[4:5], v[4:5], -v[24:25]
	v_add_f64_e32 v[47:48], v[18:19], v[28:29]
	v_add_f64_e32 v[49:50], v[14:15], v[22:23]
	v_add_f64_e64 v[14:15], v[14:15], -v[22:23]
	v_add_f64_e32 v[51:52], v[57:58], v[65:66]
	v_add_f64_e32 v[53:54], v[61:62], v[69:70]
	v_add_f64_e64 v[61:62], v[61:62], -v[69:70]
	v_add_f64_e64 v[57:58], v[57:58], -v[65:66]
	v_add_f64_e32 v[63:64], v[30:31], v[0:1]
	v_add_f64_e32 v[67:68], v[32:33], v[35:36]
	v_add_f64_e64 v[32:33], v[32:33], -v[35:36]
	v_add_f64_e64 v[0:1], v[30:31], -v[0:1]
	v_add_f64_e32 v[59:60], v[16:17], v[12:13]
	v_add_f64_e64 v[69:70], v[37:38], -v[73:74]
	v_add_f64_e32 v[37:38], v[73:74], v[37:38]
	;; [unrolled: 2-line block ×3, first 2 shown]
	v_add_f64_e32 v[65:66], v[10:11], v[6:7]
	v_add_f64_e64 v[71:72], v[45:46], -v[39:40]
	v_add_f64_e32 v[20:21], v[39:40], v[45:46]
	v_add_f64_e64 v[6:7], v[6:7], -v[10:11]
	v_add_f64_e64 v[10:11], v[18:19], -v[28:29]
	v_add_f64_e32 v[30:31], v[49:50], v[47:48]
	v_add_f64_e64 v[81:82], v[8:9], -v[4:5]
	v_add_f64_e32 v[16:17], v[53:54], v[51:52]
	;; [unrolled: 2-line block ×3, first 2 shown]
	v_add_f64_e64 v[73:74], v[32:33], -v[0:1]
	v_add_f64_e64 v[18:19], v[41:42], -v[59:60]
	;; [unrolled: 1-line block ×6, first 2 shown]
	v_add_f64_e32 v[61:62], v[69:70], v[61:62]
	v_add_f64_e64 v[79:80], v[12:13], -v[8:9]
	v_add_f64_e64 v[77:78], v[37:38], -v[53:54]
	;; [unrolled: 1-line block ×3, first 2 shown]
	v_add_f64_e32 v[8:9], v[12:13], v[8:9]
	v_add_f64_e64 v[12:13], v[4:5], -v[12:13]
	v_add_f64_e64 v[51:52], v[53:54], -v[51:52]
	;; [unrolled: 1-line block ×3, first 2 shown]
	v_add_f64_e32 v[35:36], v[59:60], v[35:36]
	v_add_f64_e64 v[45:46], v[47:48], -v[65:66]
	v_add_f64_e64 v[59:60], v[71:72], -v[32:33]
	v_add_f64_e32 v[32:33], v[71:72], v[32:33]
	v_add_f64_e64 v[83:84], v[20:21], -v[67:68]
	v_add_f64_e64 v[85:86], v[6:7], -v[14:15]
	;; [unrolled: 3-line block ×3, first 2 shown]
	v_add_f64_e64 v[71:72], v[0:1], -v[71:72]
	v_add_f64_e32 v[16:17], v[37:38], v[16:17]
	v_add_f64_e64 v[37:38], v[63:64], -v[20:21]
	v_mul_f64_e32 v[89:90], s[12:13], v[39:40]
	v_add_f64_e64 v[47:48], v[49:50], -v[47:48]
	v_add_f64_e32 v[20:21], v[20:21], v[22:23]
	v_add_f64_e32 v[14:15], v[6:7], v[14:15]
	v_mul_f64_e32 v[91:92], s[12:13], v[73:74]
	v_mul_f64_e32 v[18:19], s[0:1], v[18:19]
	;; [unrolled: 1-line block ×6, first 2 shown]
	v_add_f64_e32 v[57:58], v[61:62], v[57:58]
	v_mul_f64_e32 v[61:62], s[10:11], v[79:80]
	v_mul_f64_e32 v[63:64], s[4:5], v[77:78]
	v_add_f64_e64 v[6:7], v[10:11], -v[6:7]
	v_add_f64_e32 v[4:5], v[8:9], v[4:5]
	v_add_f64_e32 v[26:27], v[26:27], v[35:36]
	v_mul_f64_e32 v[45:46], s[0:1], v[45:46]
	v_mul_f64_e32 v[59:60], s[10:11], v[59:60]
	v_add_f64_e32 v[0:1], v[32:33], v[0:1]
	v_mul_f64_e32 v[79:80], s[10:11], v[85:86]
	v_add_f64_e32 v[2:3], v[2:3], v[30:31]
	v_mul_f64_e32 v[49:50], s[4:5], v[65:66]
	v_mul_f64_e32 v[85:86], s[12:13], v[87:88]
	v_add_f64_e32 v[32:33], v[75:76], v[16:17]
	v_mul_f64_e32 v[37:38], s[0:1], v[37:38]
	v_mul_f64_e32 v[75:76], s[4:5], v[83:84]
	s_mov_b32 s0, 0x37c3f68c
	v_add_f64_e32 v[55:56], v[55:56], v[20:21]
	v_add_f64_e32 v[8:9], v[14:15], v[10:11]
	s_mov_b32 s1, 0x3fdc38aa
	v_fma_f64 v[24:25], v[24:25], s[4:5], v[18:19]
	v_fma_f64 v[93:94], v[69:70], s[20:21], v[28:29]
	v_fma_f64 v[22:23], v[41:42], s[16:17], -v[22:23]
	v_fma_f64 v[28:29], v[39:40], s[12:13], -v[28:29]
	s_wait_alu 0xfffe
	v_fma_f64 v[39:40], v[69:70], s[22:23], -v[89:90]
	v_fma_f64 v[18:19], v[41:42], s[18:19], -v[18:19]
	;; [unrolled: 1-line block ×3, first 2 shown]
	v_fma_f64 v[10:11], v[77:78], s[4:5], v[43:44]
	v_fma_f64 v[14:15], v[51:52], s[16:17], -v[63:64]
	v_fma_f64 v[43:44], v[51:52], s[18:19], -v[43:44]
	;; [unrolled: 1-line block ×3, first 2 shown]
	v_fma_f64 v[35:36], v[35:36], s[14:15], v[26:27]
	v_fma_f64 v[41:42], v[65:66], s[4:5], v[45:46]
	;; [unrolled: 1-line block ×3, first 2 shown]
	v_fma_f64 v[59:60], v[73:74], s[12:13], -v[59:60]
	v_fma_f64 v[45:46], v[47:48], s[18:19], -v[45:46]
	;; [unrolled: 1-line block ×3, first 2 shown]
	v_fma_f64 v[30:31], v[30:31], s[14:15], v[2:3]
	v_fma_f64 v[47:48], v[47:48], s[16:17], -v[49:50]
	v_fma_f64 v[49:50], v[12:13], s[20:21], v[61:62]
	v_fma_f64 v[12:13], v[12:13], s[22:23], -v[67:68]
	v_fma_f64 v[16:17], v[16:17], s[14:15], v[32:33]
	v_fma_f64 v[61:62], v[83:84], s[4:5], v[37:38]
	;; [unrolled: 1-line block ×3, first 2 shown]
	v_fma_f64 v[6:7], v[6:7], s[22:23], -v[85:86]
	v_fma_f64 v[20:21], v[20:21], s[14:15], v[55:56]
	v_fma_f64 v[37:38], v[53:54], s[18:19], -v[37:38]
	v_fma_f64 v[63:64], v[53:54], s[16:17], -v[75:76]
	v_add_nc_u32_e32 v73, 0x400, v138
	v_fma_f64 v[53:54], v[57:58], s[0:1], v[93:94]
	v_fma_f64 v[28:29], v[57:58], s[0:1], v[28:29]
	;; [unrolled: 1-line block ×3, first 2 shown]
	v_add_f64_e32 v[24:25], v[24:25], v[35:36]
	v_add_f64_e32 v[18:19], v[18:19], v[35:36]
	;; [unrolled: 1-line block ×3, first 2 shown]
	v_fma_f64 v[35:36], v[0:1], s[0:1], v[65:66]
	v_fma_f64 v[57:58], v[0:1], s[0:1], v[59:60]
	;; [unrolled: 1-line block ×3, first 2 shown]
	v_add_f64_e32 v[41:42], v[41:42], v[30:31]
	v_add_f64_e32 v[45:46], v[45:46], v[30:31]
	;; [unrolled: 1-line block ×3, first 2 shown]
	v_fma_f64 v[47:48], v[4:5], s[0:1], v[49:50]
	v_add_f64_e32 v[10:11], v[10:11], v[16:17]
	v_fma_f64 v[49:50], v[4:5], s[0:1], v[51:52]
	v_fma_f64 v[4:5], v[4:5], s[0:1], v[12:13]
	v_add_f64_e32 v[12:13], v[43:44], v[16:17]
	v_add_f64_e32 v[14:15], v[14:15], v[16:17]
	v_fma_f64 v[16:17], v[8:9], s[0:1], v[67:68]
	v_fma_f64 v[43:44], v[8:9], s[0:1], v[71:72]
	;; [unrolled: 1-line block ×3, first 2 shown]
	v_add_f64_e32 v[8:9], v[61:62], v[20:21]
	v_add_f64_e32 v[37:38], v[37:38], v[20:21]
	;; [unrolled: 1-line block ×5, first 2 shown]
	v_add_f64_e64 v[61:62], v[22:23], -v[28:29]
	v_add_f64_e32 v[22:23], v[28:29], v[22:23]
	v_add_f64_e64 v[18:19], v[18:19], -v[39:40]
	v_add_f64_e64 v[24:25], v[24:25], -v[53:54]
	v_add_f64_e32 v[28:29], v[35:36], v[41:42]
	v_add_f64_e32 v[39:40], v[0:1], v[45:46]
	v_add_f64_e64 v[53:54], v[30:31], -v[57:58]
	v_add_f64_e32 v[30:31], v[57:58], v[30:31]
	v_add_f64_e64 v[0:1], v[45:46], -v[0:1]
	v_add_f64_e64 v[35:36], v[41:42], -v[35:36]
	;; [unrolled: 1-line block ×4, first 2 shown]
	v_add_f64_e32 v[57:58], v[49:50], v[14:15]
	v_add_f64_e64 v[49:50], v[14:15], -v[49:50]
	v_add_f64_e32 v[63:64], v[4:5], v[12:13]
	v_add_f64_e32 v[47:48], v[47:48], v[10:11]
	v_add_f64_e64 v[65:66], v[8:9], -v[16:17]
	v_add_f64_e64 v[67:68], v[37:38], -v[6:7]
	v_add_f64_e32 v[69:70], v[43:44], v[20:21]
	v_add_f64_e64 v[43:44], v[20:21], -v[43:44]
	v_add_f64_e32 v[37:38], v[6:7], v[37:38]
	v_add_f64_e32 v[71:72], v[16:17], v[8:9]
	ds_store_2addr_b64 v138, v[26:27], v[51:52] offset1:39
	ds_store_2addr_b64 v138, v[59:60], v[61:62] offset0:78 offset1:117
	ds_store_2addr_b64 v138, v[22:23], v[18:19] offset0:156 offset1:195
	;; [unrolled: 1-line block ×6, first 2 shown]
	global_wb scope:SCOPE_SE
	s_wait_dscnt 0x0
	s_barrier_signal -1
	s_barrier_wait -1
	global_inv scope:SCOPE_SE
	ds_load_2addr_b64 v[20:23], v34 offset0:17 offset1:56
	ds_load_2addr_b64 v[8:11], v138 offset0:39 offset1:78
	;; [unrolled: 1-line block ×6, first 2 shown]
	ds_load_b64 v[24:25], v139
	ds_load_b64 v[26:27], v138 offset:4056
	global_wb scope:SCOPE_SE
	s_wait_dscnt 0x0
	s_barrier_signal -1
	s_barrier_wait -1
	global_inv scope:SCOPE_SE
	ds_store_2addr_b64 v138, v[32:33], v[41:42] offset1:39
	ds_store_2addr_b64 v138, v[45:46], v[57:58] offset0:78 offset1:117
	ds_store_2addr_b64 v138, v[49:50], v[63:64] offset0:156 offset1:195
	;; [unrolled: 1-line block ×6, first 2 shown]
	global_wb scope:SCOPE_SE
	s_wait_dscnt 0x0
	s_barrier_signal -1
	s_barrier_wait -1
	global_inv scope:SCOPE_SE
	s_and_saveexec_b32 s0, vcc_lo
	s_cbranch_execz .LBB0_28
; %bb.27:
	v_dual_mov_b32 v129, 0 :: v_dual_add_nc_u32 v76, 0x800, v138
	v_mul_hi_u32 v96, 0xe01e01e1, v128
	v_add_nc_u32_e32 v99, 39, v128
	s_delay_alu instid0(VALU_DEP_3) | instskip(SKIP_4) | instid1(VALU_DEP_4)
	v_dual_mov_b32 v89, v129 :: v_dual_add_nc_u32 v114, 0x4e, v128
	v_lshlrev_b64_e32 v[28:29], 4, v[128:129]
	v_dual_mov_b32 v92, v129 :: v_dual_add_nc_u32 v115, 0x75, v128
	v_dual_mov_b32 v91, v129 :: v_dual_add_nc_u32 v116, 0x9c, v128
	v_mul_lo_u32 v90, s3, v132
	v_add_co_u32 v52, vcc_lo, s8, v28
	s_wait_alu 0xfffd
	v_add_co_ci_u32_e32 v53, vcc_lo, s9, v29, vcc_lo
	v_mul_lo_u32 v93, s2, v133
	v_mad_co_u64_u32 v[80:81], null, s2, v132, 0
	s_clause 0x6
	global_load_b128 v[28:31], v[52:53], off offset:7904
	global_load_b128 v[32:35], v[52:53], off offset:7280
	;; [unrolled: 1-line block ×7, first 2 shown]
	v_dual_mov_b32 v94, v129 :: v_dual_add_nc_u32 v117, 0xc3, v128
	ds_load_2addr_b64 v[56:59], v138 offset0:195 offset1:234
	ds_load_2addr_b64 v[60:63], v138 offset0:117 offset1:156
	;; [unrolled: 1-line block ×3, first 2 shown]
	ds_load_b64 v[82:83], v138 offset:4056
	ds_load_b64 v[84:85], v139
	ds_load_2addr_b64 v[68:71], v76 offset0:173 offset1:212
	ds_load_2addr_b64 v[72:75], v76 offset0:95 offset1:134
	ds_load_2addr_b64 v[76:79], v76 offset0:17 offset1:56
	v_mov_b32_e32 v88, v129
	v_mul_hi_u32 v102, 0xe01e01e1, v99
	v_mul_hi_u32 v103, 0xe01e01e1, v114
	;; [unrolled: 1-line block ×4, first 2 shown]
	v_dual_mov_b32 v95, v129 :: v_dual_add_nc_u32 v118, 0xea, v128
	v_mul_hi_u32 v106, 0xe01e01e1, v117
	v_sub_nc_u32_e32 v107, v128, v96
	v_add3_u32 v81, v81, v93, v90
	s_delay_alu instid0(VALU_DEP_4)
	v_mul_hi_u32 v90, 0xe01e01e1, v118
	v_sub_nc_u32_e32 v108, v114, v103
	v_sub_nc_u32_e32 v109, v115, v104
	v_lshrrev_b32_e32 v93, 1, v107
	v_sub_nc_u32_e32 v107, v99, v102
	v_sub_nc_u32_e32 v110, v116, v105
	v_lshlrev_b64_e32 v[80:81], 4, v[80:81]
	v_sub_nc_u32_e32 v111, v117, v106
	v_add_nc_u32_e32 v93, v93, v96
	v_lshrrev_b32_e32 v96, 1, v107
	v_lshrrev_b32_e32 v107, 1, v108
	;; [unrolled: 1-line block ×4, first 2 shown]
	v_sub_nc_u32_e32 v112, v118, v90
	v_lshrrev_b32_e32 v110, 1, v111
	v_add_co_u32 v119, vcc_lo, s6, v80
	s_wait_alu 0xfffd
	v_add_co_ci_u32_e32 v120, vcc_lo, s7, v81, vcc_lo
	v_add_nc_u32_e32 v122, v108, v104
	v_add_nc_u32_e32 v123, v109, v105
	v_lshrrev_b32_e32 v111, 1, v112
	v_add_nc_u32_e32 v96, v96, v102
	v_add_nc_u32_e32 v121, v107, v103
	;; [unrolled: 1-line block ×3, first 2 shown]
	v_lshlrev_b64_e32 v[86:87], 4, v[130:131]
	v_add_nc_u32_e32 v90, v111, v90
	v_lshrrev_b32_e32 v93, 8, v93
	v_dual_mov_b32 v97, v129 :: v_dual_mov_b32 v98, v129
	v_dual_mov_b32 v100, v129 :: v_dual_mov_b32 v101, v129
	v_add_co_u32 v119, vcc_lo, v119, v86
	s_wait_alu 0xfffd
	v_add_co_ci_u32_e32 v120, vcc_lo, v120, v87, vcc_lo
	v_lshrrev_b32_e32 v87, 8, v96
	v_mul_u32_u24_e32 v86, 0x111, v93
	v_lshrrev_b32_e32 v93, 8, v121
	v_lshrrev_b32_e32 v96, 8, v122
	;; [unrolled: 1-line block ×4, first 2 shown]
	v_mul_u32_u24_e32 v90, 0x111, v87
	v_lshrrev_b32_e32 v122, 8, v124
	v_mul_u32_u24_e32 v124, 0x111, v93
	v_mul_u32_u24_e32 v125, 0x111, v96
	v_sub_nc_u32_e32 v86, v128, v86
	v_sub_nc_u32_e32 v90, v99, v90
	v_mul_u32_u24_e32 v126, 0x111, v121
	v_sub_nc_u32_e32 v99, v114, v124
	v_sub_nc_u32_e32 v114, v115, v125
	v_lshlrev_b32_e32 v86, 4, v86
	v_mad_u32_u24 v87, 0x222, v87, v90
	v_mul_u32_u24_e32 v127, 0x111, v122
	v_mad_u32_u24 v90, 0x222, v93, v99
	v_mad_u32_u24 v93, 0x222, v96, v114
	v_sub_nc_u32_e32 v115, v116, v126
	v_mul_u32_u24_e32 v128, 0x111, v123
	v_sub_nc_u32_e32 v116, v117, v127
	s_delay_alu instid0(VALU_DEP_3) | instskip(NEXT) | instid1(VALU_DEP_3)
	v_mad_u32_u24 v96, 0x222, v121, v115
	v_sub_nc_u32_e32 v117, v118, v128
	s_delay_alu instid0(VALU_DEP_3) | instskip(NEXT) | instid1(VALU_DEP_2)
	v_mad_u32_u24 v99, 0x222, v122, v116
	v_mad_u32_u24 v128, 0x222, v123, v117
	s_wait_loadcnt 0x6
	v_mul_f64_e32 v[80:81], v[26:27], v[30:31]
	s_wait_dscnt 0x4
	v_mul_f64_e32 v[30:31], v[82:83], v[30:31]
	s_wait_loadcnt 0x4
	v_mul_f64_e32 v[104:105], v[20:21], v[38:39]
	s_wait_dscnt 0x0
	v_mul_f64_e32 v[38:39], v[76:77], v[38:39]
	v_mul_f64_e32 v[102:103], v[14:15], v[34:35]
	s_wait_loadcnt 0x3
	v_mul_f64_e32 v[106:107], v[22:23], v[42:43]
	v_mul_f64_e32 v[42:43], v[78:79], v[42:43]
	s_wait_loadcnt 0x2
	;; [unrolled: 3-line block ×4, first 2 shown]
	v_mul_f64_e32 v[112:113], v[12:13], v[54:55]
	v_mul_f64_e32 v[54:55], v[68:69], v[54:55]
	;; [unrolled: 1-line block ×3, first 2 shown]
	v_fma_f64 v[80:81], v[82:83], v[28:29], v[80:81]
	v_fma_f64 v[26:27], v[26:27], v[28:29], -v[30:31]
	v_fma_f64 v[30:31], v[76:77], v[36:37], v[104:105]
	v_fma_f64 v[20:21], v[20:21], v[36:37], -v[38:39]
	v_fma_f64 v[28:29], v[70:71], v[32:33], v[102:103]
	v_fma_f64 v[36:37], v[78:79], v[40:41], v[106:107]
	v_fma_f64 v[38:39], v[22:23], v[40:41], -v[42:43]
	v_fma_f64 v[40:41], v[72:73], v[44:45], v[108:109]
	v_fma_f64 v[16:17], v[16:17], v[44:45], -v[46:47]
	;; [unrolled: 2-line block ×4, first 2 shown]
	v_fma_f64 v[50:51], v[14:15], v[32:33], -v[34:35]
	v_lshlrev_b64_e32 v[52:53], 4, v[87:88]
	v_lshlrev_b64_e32 v[54:55], 4, v[90:91]
	v_add_nc_u32_e32 v91, 0x111, v90
	v_add_co_u32 v68, vcc_lo, v119, v86
	v_lshlrev_b64_e32 v[70:71], 4, v[93:94]
	v_add_nc_u32_e32 v94, 0x111, v93
	s_wait_alu 0xfffd
	v_add_co_ci_u32_e32 v69, vcc_lo, 0, v120, vcc_lo
	v_lshlrev_b64_e32 v[82:83], 4, v[91:92]
	v_add_co_u32 v92, vcc_lo, v119, v52
	s_wait_alu 0xfffd
	v_add_co_ci_u32_e32 v93, vcc_lo, v120, v53, vcc_lo
	v_lshlrev_b64_e32 v[72:73], 4, v[96:97]
	v_lshlrev_b64_e32 v[74:75], 4, v[99:100]
	v_add_nc_u32_e32 v88, 0x111, v87
	v_lshlrev_b64_e32 v[76:77], 4, v[128:129]
	v_add_nc_u32_e32 v97, 0x111, v96
	v_add_nc_u32_e32 v100, 0x111, v99
	;; [unrolled: 1-line block ×3, first 2 shown]
	v_lshlrev_b64_e32 v[78:79], 4, v[88:89]
	s_delay_alu instid0(VALU_DEP_4)
	v_lshlrev_b64_e32 v[86:87], 4, v[97:98]
	v_add_f64_e64 v[14:15], v[58:59], -v[80:81]
	v_add_f64_e64 v[12:13], v[6:7], -v[26:27]
	;; [unrolled: 1-line block ×14, first 2 shown]
	v_lshlrev_b64_e32 v[80:81], 4, v[94:95]
	v_add_co_u32 v94, vcc_lo, v119, v54
	s_wait_alu 0xfffd
	v_add_co_ci_u32_e32 v95, vcc_lo, v120, v55, vcc_lo
	v_add_co_u32 v70, vcc_lo, v119, v70
	s_wait_alu 0xfffd
	v_add_co_ci_u32_e32 v71, vcc_lo, v120, v71, vcc_lo
	;; [unrolled: 3-line block ×4, first 2 shown]
	v_lshlrev_b64_e32 v[88:89], 4, v[100:101]
	v_lshlrev_b64_e32 v[90:91], 4, v[128:129]
	v_fma_f64 v[44:45], v[58:59], 2.0, -v[14:15]
	v_fma_f64 v[42:43], v[6:7], 2.0, -v[12:13]
	;; [unrolled: 1-line block ×14, first 2 shown]
	v_add_co_u32 v0, vcc_lo, v119, v76
	s_wait_alu 0xfffd
	v_add_co_ci_u32_e32 v1, vcc_lo, v120, v77, vcc_lo
	v_add_co_u32 v2, vcc_lo, v119, v78
	s_wait_alu 0xfffd
	v_add_co_ci_u32_e32 v3, vcc_lo, v120, v79, vcc_lo
	;; [unrolled: 3-line block ×7, first 2 shown]
	s_clause 0xd
	global_store_b128 v[68:69], v[46:49], off
	global_store_b128 v[68:69], v[20:23], off offset:4368
	global_store_b128 v[92:93], v[50:53], off
	global_store_b128 v[2:3], v[26:29], off
	global_store_b128 v[94:95], v[54:57], off
	global_store_b128 v[24:25], v[30:33], off
	global_store_b128 v[70:71], v[8:11], off
	global_store_b128 v[62:63], v[34:37], off
	global_store_b128 v[72:73], v[58:61], off
	global_store_b128 v[64:65], v[38:41], off
	global_store_b128 v[74:75], v[4:7], off
	global_store_b128 v[66:67], v[16:19], off
	global_store_b128 v[0:1], v[42:45], off
	global_store_b128 v[76:77], v[12:15], off
.LBB0_28:
	s_nop 0
	s_sendmsg sendmsg(MSG_DEALLOC_VGPRS)
	s_endpgm
	.section	.rodata,"a",@progbits
	.p2align	6, 0x0
	.amdhsa_kernel fft_rtc_fwd_len546_factors_13_3_7_2_wgs_117_tpt_39_halfLds_dp_op_CI_CI_unitstride_sbrr_dirReg
		.amdhsa_group_segment_fixed_size 0
		.amdhsa_private_segment_fixed_size 0
		.amdhsa_kernarg_size 104
		.amdhsa_user_sgpr_count 2
		.amdhsa_user_sgpr_dispatch_ptr 0
		.amdhsa_user_sgpr_queue_ptr 0
		.amdhsa_user_sgpr_kernarg_segment_ptr 1
		.amdhsa_user_sgpr_dispatch_id 0
		.amdhsa_user_sgpr_private_segment_size 0
		.amdhsa_wavefront_size32 1
		.amdhsa_uses_dynamic_stack 0
		.amdhsa_enable_private_segment 0
		.amdhsa_system_sgpr_workgroup_id_x 1
		.amdhsa_system_sgpr_workgroup_id_y 0
		.amdhsa_system_sgpr_workgroup_id_z 0
		.amdhsa_system_sgpr_workgroup_info 0
		.amdhsa_system_vgpr_workitem_id 0
		.amdhsa_next_free_vgpr 246
		.amdhsa_next_free_sgpr 44
		.amdhsa_reserve_vcc 1
		.amdhsa_float_round_mode_32 0
		.amdhsa_float_round_mode_16_64 0
		.amdhsa_float_denorm_mode_32 3
		.amdhsa_float_denorm_mode_16_64 3
		.amdhsa_fp16_overflow 0
		.amdhsa_workgroup_processor_mode 1
		.amdhsa_memory_ordered 1
		.amdhsa_forward_progress 0
		.amdhsa_round_robin_scheduling 0
		.amdhsa_exception_fp_ieee_invalid_op 0
		.amdhsa_exception_fp_denorm_src 0
		.amdhsa_exception_fp_ieee_div_zero 0
		.amdhsa_exception_fp_ieee_overflow 0
		.amdhsa_exception_fp_ieee_underflow 0
		.amdhsa_exception_fp_ieee_inexact 0
		.amdhsa_exception_int_div_zero 0
	.end_amdhsa_kernel
	.text
.Lfunc_end0:
	.size	fft_rtc_fwd_len546_factors_13_3_7_2_wgs_117_tpt_39_halfLds_dp_op_CI_CI_unitstride_sbrr_dirReg, .Lfunc_end0-fft_rtc_fwd_len546_factors_13_3_7_2_wgs_117_tpt_39_halfLds_dp_op_CI_CI_unitstride_sbrr_dirReg
                                        ; -- End function
	.section	.AMDGPU.csdata,"",@progbits
; Kernel info:
; codeLenInByte = 13120
; NumSgprs: 46
; NumVgprs: 246
; ScratchSize: 0
; MemoryBound: 1
; FloatMode: 240
; IeeeMode: 1
; LDSByteSize: 0 bytes/workgroup (compile time only)
; SGPRBlocks: 5
; VGPRBlocks: 30
; NumSGPRsForWavesPerEU: 46
; NumVGPRsForWavesPerEU: 246
; Occupancy: 5
; WaveLimiterHint : 1
; COMPUTE_PGM_RSRC2:SCRATCH_EN: 0
; COMPUTE_PGM_RSRC2:USER_SGPR: 2
; COMPUTE_PGM_RSRC2:TRAP_HANDLER: 0
; COMPUTE_PGM_RSRC2:TGID_X_EN: 1
; COMPUTE_PGM_RSRC2:TGID_Y_EN: 0
; COMPUTE_PGM_RSRC2:TGID_Z_EN: 0
; COMPUTE_PGM_RSRC2:TIDIG_COMP_CNT: 0
	.text
	.p2alignl 7, 3214868480
	.fill 96, 4, 3214868480
	.type	__hip_cuid_9291f35c06e897de,@object ; @__hip_cuid_9291f35c06e897de
	.section	.bss,"aw",@nobits
	.globl	__hip_cuid_9291f35c06e897de
__hip_cuid_9291f35c06e897de:
	.byte	0                               ; 0x0
	.size	__hip_cuid_9291f35c06e897de, 1

	.ident	"AMD clang version 19.0.0git (https://github.com/RadeonOpenCompute/llvm-project roc-6.4.0 25133 c7fe45cf4b819c5991fe208aaa96edf142730f1d)"
	.section	".note.GNU-stack","",@progbits
	.addrsig
	.addrsig_sym __hip_cuid_9291f35c06e897de
	.amdgpu_metadata
---
amdhsa.kernels:
  - .args:
      - .actual_access:  read_only
        .address_space:  global
        .offset:         0
        .size:           8
        .value_kind:     global_buffer
      - .offset:         8
        .size:           8
        .value_kind:     by_value
      - .actual_access:  read_only
        .address_space:  global
        .offset:         16
        .size:           8
        .value_kind:     global_buffer
      - .actual_access:  read_only
        .address_space:  global
        .offset:         24
        .size:           8
        .value_kind:     global_buffer
      - .actual_access:  read_only
        .address_space:  global
        .offset:         32
        .size:           8
        .value_kind:     global_buffer
      - .offset:         40
        .size:           8
        .value_kind:     by_value
      - .actual_access:  read_only
        .address_space:  global
        .offset:         48
        .size:           8
        .value_kind:     global_buffer
      - .actual_access:  read_only
        .address_space:  global
        .offset:         56
        .size:           8
        .value_kind:     global_buffer
      - .offset:         64
        .size:           4
        .value_kind:     by_value
      - .actual_access:  read_only
        .address_space:  global
        .offset:         72
        .size:           8
        .value_kind:     global_buffer
      - .actual_access:  read_only
        .address_space:  global
        .offset:         80
        .size:           8
        .value_kind:     global_buffer
      - .actual_access:  read_only
        .address_space:  global
        .offset:         88
        .size:           8
        .value_kind:     global_buffer
      - .actual_access:  write_only
        .address_space:  global
        .offset:         96
        .size:           8
        .value_kind:     global_buffer
    .group_segment_fixed_size: 0
    .kernarg_segment_align: 8
    .kernarg_segment_size: 104
    .language:       OpenCL C
    .language_version:
      - 2
      - 0
    .max_flat_workgroup_size: 117
    .name:           fft_rtc_fwd_len546_factors_13_3_7_2_wgs_117_tpt_39_halfLds_dp_op_CI_CI_unitstride_sbrr_dirReg
    .private_segment_fixed_size: 0
    .sgpr_count:     46
    .sgpr_spill_count: 0
    .symbol:         fft_rtc_fwd_len546_factors_13_3_7_2_wgs_117_tpt_39_halfLds_dp_op_CI_CI_unitstride_sbrr_dirReg.kd
    .uniform_work_group_size: 1
    .uses_dynamic_stack: false
    .vgpr_count:     246
    .vgpr_spill_count: 0
    .wavefront_size: 32
    .workgroup_processor_mode: 1
amdhsa.target:   amdgcn-amd-amdhsa--gfx1201
amdhsa.version:
  - 1
  - 2
...

	.end_amdgpu_metadata
